;; amdgpu-corpus repo=ROCm/rocFFT kind=compiled arch=gfx950 opt=O3
	.text
	.amdgcn_target "amdgcn-amd-amdhsa--gfx950"
	.amdhsa_code_object_version 6
	.protected	bluestein_single_back_len1547_dim1_dp_op_CI_CI ; -- Begin function bluestein_single_back_len1547_dim1_dp_op_CI_CI
	.globl	bluestein_single_back_len1547_dim1_dp_op_CI_CI
	.p2align	8
	.type	bluestein_single_back_len1547_dim1_dp_op_CI_CI,@function
bluestein_single_back_len1547_dim1_dp_op_CI_CI: ; @bluestein_single_back_len1547_dim1_dp_op_CI_CI
; %bb.0:
	s_load_dwordx4 s[4:7], s[0:1], 0x28
	v_mul_u32_u24_e32 v1, 0x227, v0
	v_add_u32_sdwa v2, s2, v1 dst_sel:DWORD dst_unused:UNUSED_PAD src0_sel:DWORD src1_sel:WORD_1
	v_mov_b32_e32 v3, 0
	v_accvgpr_write_b32 a0, v2
	s_waitcnt lgkmcnt(0)
	v_cmp_gt_u64_e32 vcc, s[4:5], v[2:3]
	s_and_saveexec_b64 s[2:3], vcc
	s_cbranch_execz .LBB0_23
; %bb.1:
	s_load_dwordx2 s[12:13], s[0:1], 0x0
	s_load_dwordx2 s[14:15], s[0:1], 0x38
	s_movk_i32 s2, 0x77
	v_mul_lo_u16_sdwa v1, v1, s2 dst_sel:DWORD dst_unused:UNUSED_PAD src0_sel:WORD_1 src1_sel:DWORD
	v_sub_u16_e32 v217, v0, v1
	s_movk_i32 s2, 0x5b
	v_cmp_gt_u16_e64 s[4:5], s2, v217
	v_lshlrev_b32_e32 v216, 4, v217
	s_and_saveexec_b64 s[2:3], s[4:5]
	s_cbranch_execz .LBB0_3
; %bb.2:
	s_load_dwordx2 s[8:9], s[0:1], 0x18
	v_accvgpr_read_b32 v10, a0
	v_mov_b32_e32 v0, s6
	v_mov_b32_e32 v1, s7
	;; [unrolled: 1-line block ×3, first 2 shown]
	s_waitcnt lgkmcnt(0)
	s_load_dwordx4 s[8:11], s[8:9], 0x0
	v_mov_b32_e32 v50, 0x5b0
	s_waitcnt lgkmcnt(0)
	v_mad_u64_u32 v[2:3], s[6:7], s10, v10, 0
	v_mad_u64_u32 v[4:5], s[6:7], s8, v217, 0
	v_mov_b32_e32 v6, v3
	v_mov_b32_e32 v8, v5
	v_mad_u64_u32 v[6:7], s[6:7], s11, v10, v[6:7]
	v_mov_b32_e32 v3, v6
	v_mad_u64_u32 v[6:7], s[6:7], s9, v217, v[8:9]
	v_mov_b32_e32 v217, 0
	s_movk_i32 s6, 0x1000
	v_lshl_add_u64 v[128:129], s[12:13], 0, v[216:217]
	v_add_co_u32_e32 v52, vcc, s6, v128
	s_movk_i32 s7, 0x2000
	s_nop 0
	v_addc_co_u32_e32 v53, vcc, 0, v129, vcc
	v_mov_b32_e32 v5, v6
	v_lshl_add_u64 v[0:1], v[2:3], 4, v[0:1]
	v_add_co_u32_e32 v54, vcc, s7, v128
	v_lshl_add_u64 v[48:49], v[4:5], 4, v[0:1]
	s_movk_i32 s10, 0x3000
	v_addc_co_u32_e32 v55, vcc, 0, v129, vcc
	global_load_dwordx4 v[0:3], v[48:49], off
	global_load_dwordx4 v[4:7], v216, s[12:13]
	v_add_co_u32_e32 v108, vcc, s10, v128
	s_mul_i32 s6, s9, 0x5b0
	v_mad_u64_u32 v[48:49], s[10:11], s8, v50, v[48:49]
	v_add_u32_e32 v49, s6, v49
	v_mad_u64_u32 v[60:61], s[10:11], s8, v50, v[48:49]
	global_load_dwordx4 v[8:11], v216, s[12:13] offset:1456
	global_load_dwordx4 v[12:15], v216, s[12:13] offset:2912
	v_mov_b32_e32 v217, v16
	v_addc_co_u32_e32 v109, vcc, 0, v129, vcc
	global_load_dwordx4 v[40:43], v[52:53], off offset:272
	global_load_dwordx4 v[36:39], v[52:53], off offset:1728
	;; [unrolled: 1-line block ×8, first 2 shown]
	v_add_u32_e32 v61, s6, v61
	global_load_dwordx4 v[52:55], v[48:49], off
	global_load_dwordx4 v[56:59], v[60:61], off
	v_mad_u64_u32 v[48:49], s[10:11], s8, v50, v[60:61]
	v_add_u32_e32 v49, s6, v49
	v_mad_u64_u32 v[68:69], s[10:11], s8, v50, v[48:49]
	v_add_u32_e32 v69, s6, v69
	global_load_dwordx4 v[60:63], v[48:49], off
	global_load_dwordx4 v[64:67], v[68:69], off
	v_mad_u64_u32 v[48:49], s[10:11], s8, v50, v[68:69]
	v_add_u32_e32 v49, s6, v49
	global_load_dwordx4 v[68:71], v[48:49], off
	v_mad_u64_u32 v[48:49], s[10:11], s8, v50, v[48:49]
	v_add_u32_e32 v49, s6, v49
	;; [unrolled: 3-line block ×7, first 2 shown]
	v_mad_u64_u32 v[110:111], s[10:11], s8, v50, v[48:49]
	s_movk_i32 s7, 0x4000
	global_load_dwordx4 v[92:95], v[48:49], off
	v_add_u32_e32 v111, s6, v111
	v_add_co_u32_e32 v120, vcc, s7, v128
	global_load_dwordx4 v[96:99], v[110:111], off
	s_nop 0
	v_addc_co_u32_e32 v121, vcc, 0, v129, vcc
	global_load_dwordx4 v[100:103], v[108:109], off offset:3728
	global_load_dwordx4 v[104:107], v[120:121], off offset:1088
	v_mad_u64_u32 v[112:113], s[10:11], s8, v50, v[110:111]
	v_add_u32_e32 v113, s6, v113
	v_mad_u64_u32 v[124:125], s[10:11], s8, v50, v[112:113]
	global_load_dwordx4 v[108:111], v[112:113], off
	v_add_u32_e32 v125, s6, v125
	global_load_dwordx4 v[112:115], v[124:125], off
	global_load_dwordx4 v[116:119], v[120:121], off offset:2544
	s_nop 0
	global_load_dwordx4 v[120:123], v[120:121], off offset:4000
	s_movk_i32 s7, 0x5000
	v_mad_u64_u32 v[132:133], s[10:11], s8, v50, v[124:125]
	v_add_co_u32_e32 v136, vcc, s7, v128
	v_add_u32_e32 v133, s6, v133
	s_nop 0
	v_addc_co_u32_e32 v137, vcc, 0, v129, vcc
	global_load_dwordx4 v[124:127], v[132:133], off
	global_load_dwordx4 v[128:131], v[136:137], off offset:1360
	v_mad_u64_u32 v[50:51], s[8:9], s8, v50, v[132:133]
	v_add_u32_e32 v51, s6, v51
	global_load_dwordx4 v[132:135], v[50:51], off
	s_nop 0
	global_load_dwordx4 v[136:139], v[136:137], off offset:2816
	s_waitcnt vmcnt(32)
	v_mul_f64 v[48:49], v[2:3], v[6:7]
	v_fmac_f64_e32 v[48:49], v[0:1], v[4:5]
	v_mul_f64 v[0:1], v[0:1], v[6:7]
	v_fma_f64 v[50:51], v[2:3], v[4:5], -v[0:1]
	ds_write_b128 v216, v[48:51]
	s_waitcnt vmcnt(21)
	v_mul_f64 v[0:1], v[54:55], v[10:11]
	v_mul_f64 v[2:3], v[52:53], v[10:11]
	v_fmac_f64_e32 v[0:1], v[52:53], v[8:9]
	v_fma_f64 v[2:3], v[54:55], v[8:9], -v[2:3]
	ds_write_b128 v216, v[0:3] offset:1456
	s_waitcnt vmcnt(20)
	v_mul_f64 v[0:1], v[58:59], v[14:15]
	v_mul_f64 v[2:3], v[56:57], v[14:15]
	v_fmac_f64_e32 v[0:1], v[56:57], v[12:13]
	v_fma_f64 v[2:3], v[58:59], v[12:13], -v[2:3]
	ds_write_b128 v216, v[0:3] offset:2912
	;; [unrolled: 6-line block ×16, first 2 shown]
.LBB0_3:
	s_or_b64 exec, exec, s[2:3]
	s_waitcnt lgkmcnt(0)
	s_barrier
	s_waitcnt lgkmcnt(0)
                                        ; implicit-def: $vgpr12_vgpr13
                                        ; implicit-def: $vgpr16_vgpr17
                                        ; implicit-def: $vgpr20_vgpr21
                                        ; implicit-def: $vgpr24_vgpr25
                                        ; implicit-def: $vgpr28_vgpr29
                                        ; implicit-def: $vgpr32_vgpr33
                                        ; implicit-def: $vgpr36_vgpr37
                                        ; implicit-def: $vgpr40_vgpr41
                                        ; implicit-def: $vgpr44_vgpr45
                                        ; implicit-def: $vgpr48_vgpr49
                                        ; implicit-def: $vgpr52_vgpr53
                                        ; implicit-def: $vgpr56_vgpr57
                                        ; implicit-def: $vgpr60_vgpr61
                                        ; implicit-def: $vgpr64_vgpr65
                                        ; implicit-def: $vgpr68_vgpr69
                                        ; implicit-def: $vgpr72_vgpr73
                                        ; implicit-def: $vgpr76_vgpr77
	s_and_saveexec_b64 s[2:3], s[4:5]
	s_cbranch_execz .LBB0_5
; %bb.4:
	ds_read_b128 v[12:15], v216
	ds_read_b128 v[16:19], v216 offset:1456
	ds_read_b128 v[20:23], v216 offset:2912
	;; [unrolled: 1-line block ×16, first 2 shown]
.LBB0_5:
	s_or_b64 exec, exec, s[2:3]
	s_mov_b32 s38, 0x5d8e7cdc
	s_waitcnt lgkmcnt(0)
	v_add_f64 v[2:3], v[18:19], -v[78:79]
	s_mov_b32 s39, 0xbfd71e95
	s_mov_b32 s48, 0x2a9d6da3
	s_load_dwordx2 s[8:9], s[0:1], 0x20
	s_load_dwordx2 s[6:7], s[0:1], 0x8
	v_add_f64 v[0:1], v[16:17], -v[76:77]
	s_mov_b32 s0, 0x370991
	v_mul_f64 v[4:5], v[2:3], s[38:39]
	s_mov_b32 s49, 0xbfe58eea
	v_add_f64 v[110:111], v[22:23], -v[74:75]
	v_add_f64 v[130:131], v[16:17], v[76:77]
	s_mov_b32 s1, 0x3fedd6d0
	v_mul_f64 v[6:7], v[0:1], s[38:39]
	v_accvgpr_write_b32 a2, v4
	s_mov_b32 s10, 0x75d4884
	v_mul_f64 v[112:113], v[110:111], s[48:49]
	v_add_f64 v[132:133], v[18:19], v[78:79]
	v_accvgpr_write_b32 a3, v5
	v_fma_f64 v[4:5], s[0:1], v[130:131], v[4:5]
	v_accvgpr_write_b32 a4, v6
	s_mov_b32 s11, 0x3fe7a5f6
	v_add_f64 v[146:147], v[20:21], v[72:73]
	v_add_f64 v[108:109], v[20:21], -v[72:73]
	v_accvgpr_write_b32 a14, v112
	v_add_f64 v[4:5], v[12:13], v[4:5]
	v_accvgpr_write_b32 a5, v7
	v_fma_f64 v[6:7], v[132:133], s[0:1], -v[6:7]
	s_mov_b32 s42, 0xeb564b22
	v_add_f64 v[148:149], v[22:23], v[74:75]
	v_mul_f64 v[114:115], v[108:109], s[48:49]
	v_accvgpr_write_b32 a15, v113
	v_fma_f64 v[112:113], s[10:11], v[146:147], v[112:113]
	v_add_f64 v[6:7], v[14:15], v[6:7]
	v_mul_f64 v[8:9], v[2:3], s[48:49]
	s_mov_b32 s43, 0xbfefdd0d
	v_add_f64 v[4:5], v[112:113], v[4:5]
	v_fma_f64 v[112:113], v[148:149], s[10:11], -v[114:115]
	v_mul_f64 v[10:11], v[0:1], s[48:49]
	v_accvgpr_write_b32 a6, v8
	s_mov_b32 s16, 0x3259b75e
	v_add_f64 v[6:7], v[112:113], v[6:7]
	v_mul_f64 v[112:113], v[110:111], s[42:43]
	v_accvgpr_write_b32 a7, v9
	v_fma_f64 v[8:9], s[10:11], v[130:131], v[8:9]
	v_accvgpr_write_b32 a8, v10
	s_mov_b32 s34, 0x7c9e640b
	s_mov_b32 s17, 0x3fb79ee6
	v_accvgpr_write_b32 a16, v114
	v_accvgpr_write_b32 a20, v112
	v_add_f64 v[8:9], v[12:13], v[8:9]
	v_accvgpr_write_b32 a9, v11
	v_fma_f64 v[10:11], v[132:133], s[10:11], -v[10:11]
	s_mov_b32 s35, 0xbfeca52d
	s_mov_b32 s28, 0x6c9a05f6
	v_accvgpr_write_b32 a17, v115
	v_mul_f64 v[114:115], v[108:109], s[42:43]
	v_accvgpr_write_b32 a21, v113
	v_fma_f64 v[112:113], s[16:17], v[146:147], v[112:113]
	v_add_f64 v[10:11], v[14:15], v[10:11]
	s_mov_b32 s2, 0x2b2883cd
	v_mul_f64 v[80:81], v[2:3], s[34:35]
	s_mov_b32 s29, 0xbfe9895b
	v_add_f64 v[8:9], v[112:113], v[8:9]
	v_fma_f64 v[112:113], v[148:149], s[16:17], -v[114:115]
	s_mov_b32 s3, 0x3fdc86fa
	v_mul_f64 v[82:83], v[0:1], s[34:35]
	v_accvgpr_write_b32 a10, v80
	s_mov_b32 s20, 0x6ed5f1bb
	v_add_f64 v[10:11], v[112:113], v[10:11]
	v_mul_f64 v[112:113], v[110:111], s[28:29]
	v_accvgpr_write_b32 a11, v81
	v_fma_f64 v[80:81], s[2:3], v[130:131], v[80:81]
	v_accvgpr_write_b32 a12, v82
	s_mov_b32 s21, 0xbfe348c8
	v_accvgpr_write_b32 a24, v114
	v_accvgpr_write_b32 a30, v112
	v_add_f64 v[80:81], v[12:13], v[80:81]
	v_accvgpr_write_b32 a13, v83
	v_fma_f64 v[82:83], v[132:133], s[2:3], -v[82:83]
	s_mov_b32 s40, 0xacd6c6b4
	v_accvgpr_write_b32 a25, v115
	v_mul_f64 v[114:115], v[108:109], s[28:29]
	v_accvgpr_write_b32 a31, v113
	v_fma_f64 v[112:113], s[20:21], v[146:147], v[112:113]
	v_add_f64 v[82:83], v[14:15], v[82:83]
	v_mul_f64 v[84:85], v[2:3], s[42:43]
	s_mov_b32 s41, 0xbfc7851a
	v_add_f64 v[80:81], v[112:113], v[80:81]
	v_fma_f64 v[112:113], v[148:149], s[20:21], -v[114:115]
	v_mul_f64 v[86:87], v[0:1], s[42:43]
	v_accvgpr_write_b32 a18, v84
	s_mov_b32 s24, 0x7faef3
	v_add_f64 v[82:83], v[112:113], v[82:83]
	v_mul_f64 v[112:113], v[110:111], s[40:41]
	v_accvgpr_write_b32 a19, v85
	v_fma_f64 v[84:85], s[16:17], v[130:131], v[84:85]
	v_accvgpr_write_b32 a22, v86
	s_mov_b32 s26, 0x923c349f
	s_mov_b32 s25, 0xbfef7484
	v_accvgpr_write_b32 a36, v114
	v_accvgpr_write_b32 a42, v112
	v_add_f64 v[84:85], v[12:13], v[84:85]
	v_accvgpr_write_b32 a23, v87
	v_fma_f64 v[86:87], v[132:133], s[16:17], -v[86:87]
	s_mov_b32 s27, 0xbfeec746
	s_mov_b32 s36, 0x4363dd80
	v_accvgpr_write_b32 a37, v115
	v_mul_f64 v[114:115], v[108:109], s[40:41]
	v_accvgpr_write_b32 a43, v113
	v_fma_f64 v[112:113], s[24:25], v[146:147], v[112:113]
	v_add_f64 v[86:87], v[14:15], v[86:87]
	s_mov_b32 s18, 0xc61f0d01
	v_mul_f64 v[88:89], v[2:3], s[26:27]
	s_mov_b32 s37, 0xbfe0d888
	v_add_f64 v[84:85], v[112:113], v[84:85]
	v_fma_f64 v[112:113], v[148:149], s[24:25], -v[114:115]
	s_mov_b32 s53, 0x3fe0d888
	s_mov_b32 s52, s36
	;; [unrolled: 1-line block ×3, first 2 shown]
	v_mul_f64 v[90:91], v[0:1], s[26:27]
	v_accvgpr_write_b32 a26, v88
	s_mov_b32 s22, 0x910ea3b9
	v_add_f64 v[86:87], v[112:113], v[86:87]
	v_mul_f64 v[112:113], v[110:111], s[52:53]
	v_accvgpr_write_b32 a27, v89
	v_fma_f64 v[88:89], s[18:19], v[130:131], v[88:89]
	v_accvgpr_write_b32 a28, v90
	s_mov_b32 s23, 0xbfeb34fa
	v_accvgpr_write_b32 a46, v114
	v_accvgpr_write_b32 a50, v112
	v_add_f64 v[88:89], v[12:13], v[88:89]
	v_accvgpr_write_b32 a29, v91
	v_fma_f64 v[90:91], v[132:133], s[18:19], -v[90:91]
	v_accvgpr_write_b32 a47, v115
	v_mul_f64 v[114:115], v[108:109], s[52:53]
	v_accvgpr_write_b32 a51, v113
	v_fma_f64 v[112:113], s[22:23], v[146:147], v[112:113]
	v_add_f64 v[90:91], v[14:15], v[90:91]
	v_mul_f64 v[92:93], v[2:3], s[28:29]
	v_add_f64 v[88:89], v[112:113], v[88:89]
	v_fma_f64 v[112:113], v[148:149], s[22:23], -v[114:115]
	s_mov_b32 s51, 0x3feec746
	s_mov_b32 s50, s26
	v_mul_f64 v[94:95], v[0:1], s[28:29]
	v_accvgpr_write_b32 a32, v92
	v_add_f64 v[90:91], v[112:113], v[90:91]
	v_mul_f64 v[112:113], v[110:111], s[50:51]
	v_accvgpr_write_b32 a33, v93
	v_fma_f64 v[92:93], s[20:21], v[130:131], v[92:93]
	v_accvgpr_write_b32 a38, v94
	v_accvgpr_write_b32 a52, v114
	;; [unrolled: 1-line block ×3, first 2 shown]
	v_add_f64 v[92:93], v[12:13], v[92:93]
	v_accvgpr_write_b32 a39, v95
	v_fma_f64 v[94:95], v[132:133], s[20:21], -v[94:95]
	v_accvgpr_write_b32 a53, v115
	v_mul_f64 v[114:115], v[108:109], s[50:51]
	v_accvgpr_write_b32 a57, v113
	v_fma_f64 v[112:113], s[18:19], v[146:147], v[112:113]
	v_add_f64 v[94:95], v[14:15], v[94:95]
	v_mul_f64 v[96:97], v[2:3], s[36:37]
	v_add_f64 v[92:93], v[112:113], v[92:93]
	v_fma_f64 v[112:113], v[148:149], s[18:19], -v[114:115]
	s_mov_b32 s31, 0x3feca52d
	s_mov_b32 s30, s34
	v_fma_f64 v[98:99], v[130:131], s[22:23], -v[96:97]
	v_accvgpr_write_b32 a60, v114
	v_add_f64 v[94:95], v[112:113], v[94:95]
	v_mul_f64 v[112:113], v[110:111], s[30:31]
	v_add_f64 v[98:99], v[12:13], v[98:99]
	v_mul_f64 v[100:101], v[0:1], s[36:37]
	v_fmac_f64_e32 v[96:97], s[22:23], v[130:131]
	v_accvgpr_write_b32 a61, v115
	v_fma_f64 v[114:115], v[146:147], s[2:3], -v[112:113]
	v_fma_f64 v[102:103], s[22:23], v[132:133], v[100:101]
	v_add_f64 v[96:97], v[12:13], v[96:97]
	v_fma_f64 v[100:101], v[132:133], s[22:23], -v[100:101]
	v_mul_f64 v[2:3], v[2:3], s[40:41]
	v_add_f64 v[98:99], v[114:115], v[98:99]
	v_mul_f64 v[114:115], v[108:109], s[30:31]
	v_fmac_f64_e32 v[112:113], s[2:3], v[146:147]
	s_mov_b32 s47, 0x3fd71e95
	s_mov_b32 s46, s38
	v_add_f64 v[100:101], v[14:15], v[100:101]
	v_fma_f64 v[104:105], v[130:131], s[24:25], -v[2:3]
	v_mul_f64 v[0:1], v[0:1], s[40:41]
	v_fmac_f64_e32 v[2:3], s[24:25], v[130:131]
	v_add_f64 v[96:97], v[112:113], v[96:97]
	v_fma_f64 v[112:113], v[148:149], s[2:3], -v[114:115]
	v_mul_f64 v[110:111], v[110:111], s[46:47]
	v_add_f64 v[104:105], v[12:13], v[104:105]
	v_fma_f64 v[106:107], s[24:25], v[132:133], v[0:1]
	v_add_f64 v[2:3], v[12:13], v[2:3]
	v_add_f64 v[100:101], v[112:113], v[100:101]
	v_fma_f64 v[112:113], v[146:147], s[0:1], -v[110:111]
	v_mul_f64 v[108:109], v[108:109], s[46:47]
	v_fmac_f64_e32 v[110:111], s[0:1], v[146:147]
	v_add_f64 v[106:107], v[14:15], v[106:107]
	v_fma_f64 v[0:1], v[132:133], s[24:25], -v[0:1]
	v_add_f64 v[104:105], v[112:113], v[104:105]
	v_fma_f64 v[112:113], s[0:1], v[148:149], v[108:109]
	v_add_f64 v[2:3], v[110:111], v[2:3]
	v_add_f64 v[110:111], v[26:27], -v[70:71]
	v_add_f64 v[0:1], v[14:15], v[0:1]
	v_add_f64 v[106:107], v[112:113], v[106:107]
	v_fma_f64 v[108:109], v[148:149], s[0:1], -v[108:109]
	v_mul_f64 v[112:113], v[110:111], s[34:35]
	v_add_f64 v[0:1], v[108:109], v[0:1]
	v_add_f64 v[168:169], v[24:25], v[68:69]
	v_add_f64 v[108:109], v[24:25], -v[68:69]
	v_accvgpr_write_b32 a34, v112
	v_fma_f64 v[116:117], s[2:3], v[148:149], v[114:115]
	v_add_f64 v[170:171], v[26:27], v[70:71]
	v_mul_f64 v[114:115], v[108:109], s[34:35]
	v_accvgpr_write_b32 a35, v113
	v_fma_f64 v[112:113], s[2:3], v[168:169], v[112:113]
	v_add_f64 v[4:5], v[112:113], v[4:5]
	v_fma_f64 v[112:113], v[170:171], s[2:3], -v[114:115]
	v_add_f64 v[6:7], v[112:113], v[6:7]
	v_mul_f64 v[112:113], v[110:111], s[28:29]
	v_accvgpr_write_b32 a40, v114
	v_accvgpr_write_b32 a44, v112
	;; [unrolled: 1-line block ×3, first 2 shown]
	v_mul_f64 v[114:115], v[108:109], s[28:29]
	v_accvgpr_write_b32 a45, v113
	v_fma_f64 v[112:113], s[20:21], v[168:169], v[112:113]
	v_add_f64 v[8:9], v[112:113], v[8:9]
	v_fma_f64 v[112:113], v[170:171], s[20:21], -v[114:115]
	s_mov_b32 s45, 0x3fc7851a
	s_mov_b32 s44, s40
	v_add_f64 v[10:11], v[112:113], v[10:11]
	v_mul_f64 v[112:113], v[110:111], s[44:45]
	v_accvgpr_write_b32 a48, v114
	v_accvgpr_write_b32 a54, v112
	;; [unrolled: 1-line block ×3, first 2 shown]
	v_mul_f64 v[114:115], v[108:109], s[44:45]
	v_accvgpr_write_b32 a55, v113
	v_fma_f64 v[112:113], s[24:25], v[168:169], v[112:113]
	v_add_f64 v[80:81], v[112:113], v[80:81]
	v_fma_f64 v[112:113], v[170:171], s[24:25], -v[114:115]
	v_add_f64 v[82:83], v[112:113], v[82:83]
	v_mul_f64 v[112:113], v[110:111], s[50:51]
	v_accvgpr_write_b32 a62, v114
	v_accvgpr_write_b32 a68, v112
	;; [unrolled: 1-line block ×3, first 2 shown]
	v_mul_f64 v[114:115], v[108:109], s[50:51]
	v_accvgpr_write_b32 a69, v113
	v_fma_f64 v[112:113], s[18:19], v[168:169], v[112:113]
	v_add_f64 v[84:85], v[112:113], v[84:85]
	v_fma_f64 v[112:113], v[170:171], s[18:19], -v[114:115]
	s_mov_b32 s45, 0x3fe58eea
	s_mov_b32 s44, s48
	v_add_f64 v[86:87], v[112:113], v[86:87]
	v_mul_f64 v[112:113], v[110:111], s[44:45]
	v_accvgpr_write_b32 a72, v114
	v_accvgpr_write_b32 a74, v112
	;; [unrolled: 1-line block ×3, first 2 shown]
	v_mul_f64 v[114:115], v[108:109], s[44:45]
	v_accvgpr_write_b32 a75, v113
	v_fma_f64 v[112:113], s[10:11], v[168:169], v[112:113]
	v_add_f64 v[88:89], v[112:113], v[88:89]
	v_fma_f64 v[112:113], v[170:171], s[10:11], -v[114:115]
	v_add_f64 v[90:91], v[112:113], v[90:91]
	v_mul_f64 v[112:113], v[110:111], s[38:39]
	v_accvgpr_write_b32 a76, v114
	v_accvgpr_write_b32 a80, v112
	;; [unrolled: 1-line block ×3, first 2 shown]
	v_mul_f64 v[114:115], v[108:109], s[38:39]
	v_accvgpr_write_b32 a81, v113
	v_fma_f64 v[112:113], s[0:1], v[168:169], v[112:113]
	v_add_f64 v[92:93], v[112:113], v[92:93]
	v_fma_f64 v[112:113], v[170:171], s[0:1], -v[114:115]
	v_accvgpr_write_b32 a84, v114
	v_add_f64 v[94:95], v[112:113], v[94:95]
	v_mul_f64 v[112:113], v[110:111], s[42:43]
	v_accvgpr_write_b32 a85, v115
	v_fma_f64 v[114:115], v[168:169], s[16:17], -v[112:113]
	v_add_f64 v[98:99], v[114:115], v[98:99]
	v_mul_f64 v[114:115], v[108:109], s[42:43]
	v_fmac_f64_e32 v[112:113], s[16:17], v[168:169]
	v_add_f64 v[96:97], v[112:113], v[96:97]
	v_fma_f64 v[112:113], v[170:171], s[16:17], -v[114:115]
	v_mul_f64 v[110:111], v[110:111], s[36:37]
	v_add_f64 v[100:101], v[112:113], v[100:101]
	v_fma_f64 v[112:113], v[168:169], s[22:23], -v[110:111]
	v_mul_f64 v[108:109], v[108:109], s[36:37]
	v_fmac_f64_e32 v[110:111], s[22:23], v[168:169]
	v_add_f64 v[104:105], v[112:113], v[104:105]
	v_fma_f64 v[112:113], s[22:23], v[170:171], v[108:109]
	v_add_f64 v[2:3], v[110:111], v[2:3]
	v_add_f64 v[110:111], v[30:31], -v[66:67]
	v_add_f64 v[106:107], v[112:113], v[106:107]
	v_fma_f64 v[108:109], v[170:171], s[22:23], -v[108:109]
	v_mul_f64 v[112:113], v[110:111], s[42:43]
	v_add_f64 v[102:103], v[14:15], v[102:103]
	v_add_f64 v[0:1], v[108:109], v[0:1]
	;; [unrolled: 1-line block ×3, first 2 shown]
	v_add_f64 v[108:109], v[28:29], -v[64:65]
	v_accvgpr_write_b32 a58, v112
	v_add_f64 v[102:103], v[116:117], v[102:103]
	v_fma_f64 v[116:117], s[16:17], v[170:171], v[114:115]
	v_add_f64 v[196:197], v[30:31], v[66:67]
	v_mul_f64 v[114:115], v[108:109], s[42:43]
	v_accvgpr_write_b32 a59, v113
	v_fma_f64 v[112:113], s[16:17], v[194:195], v[112:113]
	v_add_f64 v[4:5], v[112:113], v[4:5]
	v_fma_f64 v[112:113], v[196:197], s[16:17], -v[114:115]
	v_add_f64 v[6:7], v[112:113], v[6:7]
	v_mul_f64 v[112:113], v[110:111], s[40:41]
	v_accvgpr_write_b32 a64, v114
	v_accvgpr_write_b32 a66, v112
	;; [unrolled: 1-line block ×3, first 2 shown]
	v_mul_f64 v[114:115], v[108:109], s[40:41]
	v_accvgpr_write_b32 a67, v113
	v_fma_f64 v[112:113], s[24:25], v[194:195], v[112:113]
	v_add_f64 v[8:9], v[112:113], v[8:9]
	v_fma_f64 v[112:113], v[196:197], s[24:25], -v[114:115]
	v_add_f64 v[10:11], v[112:113], v[10:11]
	v_mul_f64 v[112:113], v[110:111], s[50:51]
	v_accvgpr_write_b32 a70, v114
	v_accvgpr_write_b32 a78, v112
	v_accvgpr_write_b32 a71, v115
	v_mul_f64 v[114:115], v[108:109], s[50:51]
	v_accvgpr_write_b32 a79, v113
	v_fma_f64 v[112:113], s[18:19], v[194:195], v[112:113]
	v_add_f64 v[80:81], v[112:113], v[80:81]
	v_fma_f64 v[112:113], v[196:197], s[18:19], -v[114:115]
	v_mul_f64 v[214:215], v[110:111], s[46:47]
	v_add_f64 v[82:83], v[112:113], v[82:83]
	v_mul_f64 v[222:223], v[108:109], s[46:47]
	v_fma_f64 v[112:113], s[0:1], v[194:195], v[214:215]
	v_add_f64 v[84:85], v[112:113], v[84:85]
	v_fma_f64 v[112:113], v[196:197], s[0:1], -v[222:223]
	v_mul_f64 v[224:225], v[110:111], s[34:35]
	v_add_f64 v[86:87], v[112:113], v[86:87]
	v_mul_f64 v[230:231], v[108:109], s[34:35]
	;; [unrolled: 6-line block ×3, first 2 shown]
	v_fma_f64 v[112:113], s[22:23], v[194:195], v[234:235]
	v_add_f64 v[92:93], v[112:113], v[92:93]
	v_fma_f64 v[112:113], v[196:197], s[22:23], -v[236:237]
	s_mov_b32 s55, 0x3fe9895b
	s_mov_b32 s54, s28
	v_accvgpr_write_b32 a86, v114
	v_add_f64 v[94:95], v[112:113], v[94:95]
	v_mul_f64 v[112:113], v[110:111], s[54:55]
	v_accvgpr_write_b32 a87, v115
	v_fma_f64 v[114:115], v[194:195], s[20:21], -v[112:113]
	v_add_f64 v[98:99], v[114:115], v[98:99]
	v_mul_f64 v[114:115], v[108:109], s[54:55]
	v_fmac_f64_e32 v[112:113], s[20:21], v[194:195]
	v_add_f64 v[96:97], v[112:113], v[96:97]
	v_fma_f64 v[112:113], v[196:197], s[20:21], -v[114:115]
	v_mul_f64 v[110:111], v[110:111], s[44:45]
	v_add_f64 v[100:101], v[112:113], v[100:101]
	v_fma_f64 v[112:113], v[194:195], s[10:11], -v[110:111]
	v_mul_f64 v[108:109], v[108:109], s[44:45]
	v_fmac_f64_e32 v[110:111], s[10:11], v[194:195]
	v_add_f64 v[104:105], v[112:113], v[104:105]
	v_fma_f64 v[112:113], s[10:11], v[196:197], v[108:109]
	v_add_f64 v[2:3], v[110:111], v[2:3]
	v_add_f64 v[110:111], v[34:35], -v[62:63]
	v_add_f64 v[106:107], v[112:113], v[106:107]
	v_fma_f64 v[108:109], v[196:197], s[10:11], -v[108:109]
	v_mul_f64 v[112:113], v[110:111], s[26:27]
	v_add_f64 v[0:1], v[108:109], v[0:1]
	v_add_f64 v[226:227], v[32:33], v[60:61]
	v_add_f64 v[108:109], v[32:33], -v[60:61]
	v_accvgpr_write_b32 a82, v112
	v_add_f64 v[102:103], v[116:117], v[102:103]
	v_fma_f64 v[116:117], s[20:21], v[196:197], v[114:115]
	v_add_f64 v[228:229], v[34:35], v[62:63]
	v_mul_f64 v[114:115], v[108:109], s[26:27]
	v_accvgpr_write_b32 a83, v113
	v_fma_f64 v[112:113], s[18:19], v[226:227], v[112:113]
	v_add_f64 v[4:5], v[112:113], v[4:5]
	v_fma_f64 v[112:113], v[228:229], s[18:19], -v[114:115]
	v_add_f64 v[6:7], v[112:113], v[6:7]
	v_mul_f64 v[112:113], v[110:111], s[52:53]
	v_accvgpr_write_b32 a90, v112
	v_mul_f64 v[220:221], v[108:109], s[52:53]
	v_accvgpr_write_b32 a91, v113
	v_fma_f64 v[112:113], s[22:23], v[226:227], v[112:113]
	v_add_f64 v[8:9], v[112:113], v[8:9]
	v_fma_f64 v[112:113], v[228:229], s[22:23], -v[220:221]
	v_mul_f64 v[232:233], v[110:111], s[44:45]
	v_add_f64 v[10:11], v[112:113], v[10:11]
	v_mul_f64 v[240:241], v[108:109], s[44:45]
	v_fma_f64 v[112:113], s[10:11], v[226:227], v[232:233]
	v_add_f64 v[80:81], v[112:113], v[80:81]
	v_fma_f64 v[112:113], v[228:229], s[10:11], -v[240:241]
	v_mul_f64 v[246:247], v[110:111], s[34:35]
	v_add_f64 v[82:83], v[112:113], v[82:83]
	v_mul_f64 v[250:251], v[108:109], s[34:35]
	;; [unrolled: 6-line block ×3, first 2 shown]
	v_fma_f64 v[112:113], s[24:25], v[226:227], v[120:121]
	s_mov_b32 s35, 0x3fefdd0d
	s_mov_b32 s34, s42
	v_add_f64 v[88:89], v[112:113], v[88:89]
	v_fma_f64 v[112:113], v[228:229], s[24:25], -v[122:123]
	v_mul_f64 v[218:219], v[110:111], s[34:35]
	v_add_f64 v[90:91], v[112:113], v[90:91]
	v_mul_f64 v[128:129], v[108:109], s[34:35]
	v_fma_f64 v[112:113], s[16:17], v[226:227], v[218:219]
	v_add_f64 v[92:93], v[112:113], v[92:93]
	v_fma_f64 v[112:113], v[228:229], s[16:17], -v[128:129]
	v_accvgpr_write_b32 a88, v114
	v_add_f64 v[94:95], v[112:113], v[94:95]
	v_mul_f64 v[112:113], v[110:111], s[38:39]
	v_accvgpr_write_b32 a89, v115
	v_fma_f64 v[114:115], v[226:227], s[0:1], -v[112:113]
	v_add_f64 v[98:99], v[114:115], v[98:99]
	v_mul_f64 v[114:115], v[108:109], s[38:39]
	v_fmac_f64_e32 v[112:113], s[0:1], v[226:227]
	v_add_f64 v[96:97], v[112:113], v[96:97]
	v_fma_f64 v[112:113], v[228:229], s[0:1], -v[114:115]
	v_mul_f64 v[110:111], v[110:111], s[28:29]
	v_add_f64 v[100:101], v[112:113], v[100:101]
	v_fma_f64 v[112:113], v[226:227], s[20:21], -v[110:111]
	v_mul_f64 v[108:109], v[108:109], s[28:29]
	v_add_f64 v[134:135], v[38:39], -v[58:59]
	v_add_f64 v[104:105], v[112:113], v[104:105]
	v_fma_f64 v[112:113], s[20:21], v[228:229], v[108:109]
	v_fma_f64 v[108:109], v[228:229], s[20:21], -v[108:109]
	v_add_f64 v[252:253], v[36:37], v[56:57]
	v_add_f64 v[126:127], v[36:37], -v[56:57]
	v_mul_f64 v[238:239], v[134:135], s[28:29]
	v_add_f64 v[0:1], v[108:109], v[0:1]
	v_add_f64 v[254:255], v[38:39], v[58:59]
	v_mul_f64 v[242:243], v[126:127], s[28:29]
	v_fma_f64 v[108:109], s[20:21], v[252:253], v[238:239]
	v_add_f64 v[4:5], v[108:109], v[4:5]
	v_fma_f64 v[108:109], v[254:255], s[20:21], -v[242:243]
	v_mul_f64 v[244:245], v[134:135], s[50:51]
	v_add_f64 v[6:7], v[108:109], v[6:7]
	v_mul_f64 v[248:249], v[126:127], s[50:51]
	v_fma_f64 v[108:109], s[18:19], v[252:253], v[244:245]
	v_add_f64 v[8:9], v[108:109], v[8:9]
	v_fma_f64 v[108:109], v[254:255], s[18:19], -v[248:249]
	v_mul_f64 v[124:125], v[134:135], s[38:39]
	v_add_f64 v[102:103], v[116:117], v[102:103]
	v_fma_f64 v[116:117], s[0:1], v[228:229], v[114:115]
	v_add_f64 v[10:11], v[108:109], v[10:11]
	v_mul_f64 v[136:137], v[126:127], s[38:39]
	v_fma_f64 v[108:109], s[0:1], v[252:253], v[124:125]
	v_add_f64 v[102:103], v[116:117], v[102:103]
	v_add_f64 v[80:81], v[108:109], v[80:81]
	v_fma_f64 v[108:109], v[254:255], s[0:1], -v[136:137]
	v_mul_f64 v[116:117], v[134:135], s[36:37]
	v_add_f64 v[152:153], v[108:109], v[82:83]
	v_mul_f64 v[118:119], v[126:127], s[36:37]
	v_fma_f64 v[82:83], s[22:23], v[252:253], v[116:117]
	v_add_f64 v[106:107], v[112:113], v[106:107]
	v_add_f64 v[84:85], v[82:83], v[84:85]
	v_fma_f64 v[82:83], v[254:255], s[22:23], -v[118:119]
	v_mul_f64 v[112:113], v[134:135], s[34:35]
	v_add_f64 v[86:87], v[82:83], v[86:87]
	v_mul_f64 v[114:115], v[126:127], s[34:35]
	v_fma_f64 v[82:83], s[16:17], v[252:253], v[112:113]
	v_fmac_f64_e32 v[110:111], s[20:21], v[226:227]
	v_add_f64 v[88:89], v[82:83], v[88:89]
	v_fma_f64 v[82:83], v[254:255], s[16:17], -v[114:115]
	v_mul_f64 v[108:109], v[134:135], s[48:49]
	v_add_f64 v[2:3], v[110:111], v[2:3]
	v_add_f64 v[90:91], v[82:83], v[90:91]
	v_mul_f64 v[110:111], v[126:127], s[48:49]
	v_fma_f64 v[82:83], s[10:11], v[252:253], v[108:109]
	v_add_f64 v[92:93], v[82:83], v[92:93]
	v_fma_f64 v[82:83], v[254:255], s[10:11], -v[110:111]
	v_add_f64 v[94:95], v[82:83], v[94:95]
	v_mul_f64 v[82:83], v[134:135], s[40:41]
	v_fma_f64 v[138:139], v[252:253], s[24:25], -v[82:83]
	v_add_f64 v[98:99], v[138:139], v[98:99]
	v_mul_f64 v[138:139], v[126:127], s[40:41]
	v_fmac_f64_e32 v[82:83], s[24:25], v[252:253]
	v_add_f64 v[96:97], v[82:83], v[96:97]
	v_fma_f64 v[82:83], v[254:255], s[24:25], -v[138:139]
	v_add_f64 v[100:101], v[82:83], v[100:101]
	v_mul_f64 v[82:83], v[134:135], s[30:31]
	v_fma_f64 v[134:135], v[252:253], s[2:3], -v[82:83]
	v_mul_f64 v[126:127], v[126:127], s[30:31]
	v_fmac_f64_e32 v[82:83], s[2:3], v[252:253]
	v_add_f64 v[166:167], v[42:43], -v[54:55]
	v_add_f64 v[104:105], v[134:135], v[104:105]
	v_fma_f64 v[134:135], s[2:3], v[254:255], v[126:127]
	v_add_f64 v[154:155], v[82:83], v[2:3]
	v_fma_f64 v[2:3], v[254:255], s[2:3], -v[126:127]
	v_add_f64 v[142:143], v[40:41], v[52:53]
	v_add_f64 v[162:163], v[40:41], -v[52:53]
	v_mul_f64 v[126:127], v[166:167], s[36:37]
	v_add_f64 v[106:107], v[134:135], v[106:107]
	v_add_f64 v[160:161], v[2:3], v[0:1]
	v_add_f64 v[144:145], v[42:43], v[54:55]
	v_mul_f64 v[134:135], v[162:163], s[36:37]
	v_fma_f64 v[0:1], s[22:23], v[142:143], v[126:127]
	v_fma_f64 v[140:141], s[24:25], v[254:255], v[138:139]
	v_add_f64 v[174:175], v[0:1], v[4:5]
	v_fma_f64 v[0:1], v[144:145], s[22:23], -v[134:135]
	v_mul_f64 v[138:139], v[166:167], s[30:31]
	v_add_f64 v[102:103], v[140:141], v[102:103]
	v_add_f64 v[182:183], v[0:1], v[6:7]
	v_mul_f64 v[140:141], v[162:163], s[30:31]
	v_fma_f64 v[0:1], s[2:3], v[142:143], v[138:139]
	v_add_f64 v[184:185], v[0:1], v[8:9]
	v_fma_f64 v[0:1], v[144:145], s[2:3], -v[140:141]
	v_mul_f64 v[150:151], v[166:167], s[42:43]
	v_add_f64 v[186:187], v[0:1], v[10:11]
	v_mul_f64 v[156:157], v[162:163], s[42:43]
	v_fma_f64 v[0:1], s[16:17], v[142:143], v[150:151]
	v_add_f64 v[82:83], v[0:1], v[80:81]
	v_fma_f64 v[0:1], v[144:145], s[16:17], -v[156:157]
	v_mul_f64 v[158:159], v[166:167], s[54:55]
	;; [unrolled: 6-line block ×4, first 2 shown]
	v_add_f64 v[4:5], v[0:1], v[90:91]
	v_mul_f64 v[180:181], v[162:163], s[40:41]
	v_fma_f64 v[0:1], s[24:25], v[142:143], v[178:179]
	v_add_f64 v[92:93], v[0:1], v[92:93]
	v_fma_f64 v[0:1], v[144:145], s[24:25], -v[180:181]
	v_add_f64 v[94:95], v[0:1], v[94:95]
	v_mul_f64 v[0:1], v[166:167], s[44:45]
	v_fma_f64 v[2:3], v[142:143], s[10:11], -v[0:1]
	v_add_f64 v[88:89], v[2:3], v[98:99]
	v_mul_f64 v[2:3], v[162:163], s[44:45]
	v_fma_f64 v[84:85], s[10:11], v[144:145], v[2:3]
	v_add_f64 v[90:91], v[84:85], v[102:103]
	v_mul_f64 v[84:85], v[166:167], s[26:27]
	v_fma_f64 v[2:3], v[144:145], s[10:11], -v[2:3]
	v_fma_f64 v[86:87], v[142:143], s[18:19], -v[84:85]
	v_fmac_f64_e32 v[0:1], s[10:11], v[142:143]
	v_add_f64 v[2:3], v[2:3], v[100:101]
	v_add_f64 v[100:101], v[86:87], v[104:105]
	v_mul_f64 v[86:87], v[162:163], s[26:27]
	v_fmac_f64_e32 v[84:85], s[18:19], v[142:143]
	v_add_f64 v[0:1], v[0:1], v[96:97]
	v_fma_f64 v[96:97], s[18:19], v[144:145], v[86:87]
	v_add_f64 v[104:105], v[84:85], v[154:155]
	v_fma_f64 v[84:85], v[144:145], s[18:19], -v[86:87]
	v_add_f64 v[192:193], v[46:47], -v[50:51]
	v_add_f64 v[102:103], v[96:97], v[106:107]
	v_add_f64 v[106:107], v[84:85], v[160:161]
	;; [unrolled: 1-line block ×3, first 2 shown]
	v_add_f64 v[190:191], v[44:45], -v[48:49]
	v_mul_f64 v[152:153], v[192:193], s[40:41]
	v_add_f64 v[162:163], v[46:47], v[50:51]
	v_mul_f64 v[154:155], v[190:191], s[40:41]
	v_fma_f64 v[84:85], s[24:25], v[160:161], v[152:153]
	v_add_f64 v[210:211], v[84:85], v[174:175]
	v_fma_f64 v[84:85], v[162:163], s[24:25], -v[154:155]
	v_mul_f64 v[166:167], v[192:193], s[46:47]
	v_add_f64 v[212:213], v[84:85], v[182:183]
	v_mul_f64 v[174:175], v[190:191], s[46:47]
	v_fma_f64 v[84:85], s[0:1], v[160:161], v[166:167]
	v_add_f64 v[202:203], v[84:85], v[184:185]
	v_fma_f64 v[84:85], v[162:163], s[0:1], -v[174:175]
	v_mul_f64 v[182:183], v[192:193], s[36:37]
	v_add_f64 v[204:205], v[84:85], v[186:187]
	v_mul_f64 v[184:185], v[190:191], s[36:37]
	v_fma_f64 v[84:85], s[22:23], v[160:161], v[182:183]
	v_add_f64 v[206:207], v[84:85], v[82:83]
	v_fma_f64 v[82:83], v[162:163], s[22:23], -v[184:185]
	v_mul_f64 v[186:187], v[192:193], s[44:45]
	v_add_f64 v[208:209], v[82:83], v[80:81]
	v_mul_f64 v[188:189], v[190:191], s[44:45]
	v_fma_f64 v[80:81], s[10:11], v[160:161], v[186:187]
	v_add_f64 v[80:81], v[80:81], v[10:11]
	v_fma_f64 v[10:11], v[162:163], s[10:11], -v[188:189]
	v_mul_f64 v[198:199], v[192:193], s[28:29]
	v_add_f64 v[82:83], v[10:11], v[8:9]
	v_mul_f64 v[200:201], v[190:191], s[28:29]
	v_fma_f64 v[8:9], s[20:21], v[160:161], v[198:199]
	v_add_f64 v[84:85], v[8:9], v[6:7]
	v_fma_f64 v[6:7], v[162:163], s[20:21], -v[200:201]
	v_add_f64 v[86:87], v[6:7], v[4:5]
	v_mul_f64 v[4:5], v[192:193], s[30:31]
	v_mul_f64 v[6:7], v[190:191], s[30:31]
	v_fma_f64 v[8:9], s[2:3], v[160:161], v[4:5]
	v_add_f64 v[92:93], v[8:9], v[92:93]
	v_fma_f64 v[8:9], v[162:163], s[2:3], -v[6:7]
	v_add_f64 v[94:95], v[8:9], v[94:95]
	v_mul_f64 v[8:9], v[192:193], s[26:27]
	v_fma_f64 v[10:11], v[160:161], s[18:19], -v[8:9]
	v_add_f64 v[88:89], v[10:11], v[88:89]
	v_mul_f64 v[10:11], v[190:191], s[26:27]
	v_fma_f64 v[96:97], s[18:19], v[162:163], v[10:11]
	v_fmac_f64_e32 v[8:9], s[18:19], v[160:161]
	v_add_f64 v[90:91], v[96:97], v[90:91]
	v_add_f64 v[96:97], v[8:9], v[0:1]
	v_fma_f64 v[0:1], v[162:163], s[18:19], -v[10:11]
	v_add_f64 v[98:99], v[0:1], v[2:3]
	v_mul_f64 v[0:1], v[192:193], s[34:35]
	v_fma_f64 v[2:3], v[160:161], s[16:17], -v[0:1]
	v_add_f64 v[100:101], v[2:3], v[100:101]
	v_mul_f64 v[2:3], v[190:191], s[34:35]
	v_fmac_f64_e32 v[0:1], s[16:17], v[160:161]
	v_mov_b64_e32 v[190:191], v[210:211]
	v_fma_f64 v[8:9], s[16:17], v[162:163], v[2:3]
	v_add_f64 v[104:105], v[0:1], v[104:105]
	v_fma_f64 v[0:1], v[162:163], s[16:17], -v[2:3]
	v_mov_b64_e32 v[192:193], v[212:213]
	v_add_f64 v[102:103], v[8:9], v[102:103]
	v_add_f64 v[106:107], v[0:1], v[106:107]
	v_mul_lo_u16_e32 v212, 17, v217
	s_waitcnt lgkmcnt(0)
	s_barrier
	s_and_saveexec_b64 s[26:27], s[4:5]
	s_cbranch_execz .LBB0_7
; %bb.6:
	v_mul_f64 v[0:1], v[162:163], s[2:3]
	v_mul_f64 v[8:9], v[228:229], s[16:17]
	v_add_f64 v[0:1], v[6:7], v[0:1]
	v_mul_f64 v[2:3], v[144:145], s[24:25]
	v_mul_f64 v[6:7], v[254:255], s[10:11]
	v_add_f64 v[8:9], v[128:129], v[8:9]
	v_accvgpr_read_b32 v129, a85
	v_add_f64 v[2:3], v[180:181], v[2:3]
	v_add_f64 v[6:7], v[110:111], v[6:7]
	v_mul_f64 v[110:111], v[170:171], s[0:1]
	v_accvgpr_read_b32 v128, a84
	v_accvgpr_read_b32 v181, a61
	v_add_f64 v[110:111], v[128:129], v[110:111]
	v_mul_f64 v[128:129], v[148:149], s[18:19]
	v_accvgpr_read_b32 v180, a60
	v_accvgpr_read_b32 v211, a39
	v_add_f64 v[128:129], v[180:181], v[128:129]
	v_mul_f64 v[180:181], v[132:133], s[20:21]
	v_accvgpr_read_b32 v210, a38
	v_add_f64 v[180:181], v[210:211], v[180:181]
	v_add_f64 v[180:181], v[14:15], v[180:181]
	v_mul_f64 v[10:11], v[196:197], s[22:23]
	v_add_f64 v[128:129], v[128:129], v[180:181]
	v_add_f64 v[10:11], v[236:237], v[10:11]
	;; [unrolled: 1-line block ×7, first 2 shown]
	v_mul_f64 v[6:7], v[160:161], s[2:3]
	v_add_f64 v[4:5], v[6:7], -v[4:5]
	v_mul_f64 v[6:7], v[142:143], s[24:25]
	v_accvgpr_read_b32 v129, a81
	v_add_f64 v[6:7], v[6:7], -v[178:179]
	v_mul_f64 v[110:111], v[168:169], s[0:1]
	v_accvgpr_read_b32 v128, a80
	v_accvgpr_read_b32 v179, a57
	v_add_f64 v[110:111], v[110:111], -v[128:129]
	v_mul_f64 v[128:129], v[146:147], s[18:19]
	v_accvgpr_read_b32 v178, a56
	;; [unrolled: 4-line block ×3, first 2 shown]
	v_add_f64 v[178:179], v[178:179], -v[180:181]
	v_mul_f64 v[8:9], v[252:253], s[10:11]
	v_add_f64 v[178:179], v[12:13], v[178:179]
	v_add_f64 v[8:9], v[8:9], -v[108:109]
	v_mul_f64 v[108:109], v[194:195], s[22:23]
	v_add_f64 v[128:129], v[128:129], v[178:179]
	v_mul_f64 v[10:11], v[226:227], s[16:17]
	v_add_f64 v[108:109], v[108:109], -v[234:235]
	v_add_f64 v[110:111], v[110:111], v[128:129]
	v_add_f64 v[10:11], v[10:11], -v[218:219]
	v_add_f64 v[108:109], v[108:109], v[110:111]
	v_add_f64 v[10:11], v[10:11], v[108:109]
	;; [unrolled: 1-line block ×5, first 2 shown]
	v_mul_f64 v[4:5], v[254:255], s[16:17]
	v_add_f64 v[4:5], v[114:115], v[4:5]
	v_mul_f64 v[6:7], v[228:229], s[24:25]
	v_accvgpr_read_b32 v115, a77
	v_add_f64 v[6:7], v[122:123], v[6:7]
	v_mul_f64 v[10:11], v[170:171], s[10:11]
	v_accvgpr_read_b32 v114, a76
	v_accvgpr_read_b32 v123, a53
	v_add_f64 v[10:11], v[114:115], v[10:11]
	v_mul_f64 v[114:115], v[148:149], s[22:23]
	v_accvgpr_read_b32 v122, a52
	;; [unrolled: 4-line block ×3, first 2 shown]
	v_add_f64 v[122:123], v[128:129], v[122:123]
	v_add_f64 v[122:123], v[14:15], v[122:123]
	v_mul_f64 v[8:9], v[196:197], s[2:3]
	v_add_f64 v[114:115], v[114:115], v[122:123]
	v_add_f64 v[8:9], v[230:231], v[8:9]
	;; [unrolled: 1-line block ×4, first 2 shown]
	v_mul_f64 v[10:11], v[226:227], s[24:25]
	v_add_f64 v[10:11], v[10:11], -v[120:121]
	v_accvgpr_read_b32 v121, a75
	v_mul_f64 v[114:115], v[168:169], s[10:11]
	v_accvgpr_read_b32 v120, a74
	v_accvgpr_read_b32 v123, a51
	v_add_f64 v[114:115], v[114:115], -v[120:121]
	v_mul_f64 v[120:121], v[146:147], s[22:23]
	v_accvgpr_read_b32 v122, a50
	v_accvgpr_read_b32 v129, a27
	v_add_f64 v[120:121], v[120:121], -v[122:123]
	v_mul_f64 v[122:123], v[130:131], s[18:19]
	v_accvgpr_read_b32 v128, a26
	v_add_f64 v[122:123], v[122:123], -v[128:129]
	v_add_f64 v[6:7], v[6:7], v[8:9]
	v_mul_f64 v[8:9], v[252:253], s[16:17]
	v_add_f64 v[122:123], v[12:13], v[122:123]
	v_add_f64 v[8:9], v[8:9], -v[112:113]
	v_mul_f64 v[112:113], v[194:195], s[2:3]
	v_add_f64 v[120:121], v[120:121], v[122:123]
	v_add_f64 v[112:113], v[112:113], -v[224:225]
	v_add_f64 v[114:115], v[114:115], v[120:121]
	v_add_f64 v[110:111], v[0:1], v[2:3]
	v_mul_f64 v[2:3], v[144:145], s[0:1]
	v_add_f64 v[112:113], v[112:113], v[114:115]
	v_add_f64 v[2:3], v[176:177], v[2:3]
	;; [unrolled: 1-line block ×3, first 2 shown]
	v_mul_f64 v[6:7], v[142:143], s[0:1]
	v_add_f64 v[10:11], v[10:11], v[112:113]
	v_add_f64 v[2:3], v[2:3], v[4:5]
	v_mul_f64 v[4:5], v[160:161], s[20:21]
	v_add_f64 v[6:7], v[6:7], -v[172:173]
	v_add_f64 v[8:9], v[8:9], v[10:11]
	v_add_f64 v[4:5], v[4:5], -v[198:199]
	v_add_f64 v[6:7], v[6:7], v[8:9]
	v_add_f64 v[112:113], v[4:5], v[6:7]
	v_mul_f64 v[4:5], v[254:255], s[22:23]
	v_add_f64 v[4:5], v[118:119], v[4:5]
	v_accvgpr_read_b32 v119, a73
	v_mul_f64 v[10:11], v[170:171], s[18:19]
	v_accvgpr_read_b32 v118, a72
	v_accvgpr_read_b32 v121, a47
	v_add_f64 v[10:11], v[118:119], v[10:11]
	v_mul_f64 v[118:119], v[148:149], s[24:25]
	v_accvgpr_read_b32 v120, a46
	v_accvgpr_read_b32 v123, a23
	v_add_f64 v[118:119], v[120:121], v[118:119]
	v_mul_f64 v[120:121], v[132:133], s[16:17]
	v_accvgpr_read_b32 v122, a22
	v_add_f64 v[120:121], v[122:123], v[120:121]
	v_add_f64 v[120:121], v[14:15], v[120:121]
	;; [unrolled: 1-line block ×3, first 2 shown]
	v_accvgpr_read_b32 v121, a69
	v_add_f64 v[10:11], v[10:11], v[118:119]
	v_mul_f64 v[118:119], v[168:169], s[18:19]
	v_accvgpr_read_b32 v120, a68
	v_accvgpr_read_b32 v123, a43
	v_mul_f64 v[8:9], v[196:197], s[0:1]
	v_add_f64 v[118:119], v[118:119], -v[120:121]
	v_mul_f64 v[120:121], v[146:147], s[24:25]
	v_accvgpr_read_b32 v122, a42
	v_accvgpr_read_b32 v129, a19
	v_mul_f64 v[6:7], v[228:229], s[2:3]
	v_add_f64 v[8:9], v[222:223], v[8:9]
	v_add_f64 v[120:121], v[120:121], -v[122:123]
	v_mul_f64 v[122:123], v[130:131], s[16:17]
	v_accvgpr_read_b32 v128, a18
	v_add_f64 v[6:7], v[250:251], v[6:7]
	v_add_f64 v[8:9], v[8:9], v[10:11]
	v_add_f64 v[122:123], v[122:123], -v[128:129]
	v_add_f64 v[6:7], v[6:7], v[8:9]
	v_mul_f64 v[8:9], v[252:253], s[22:23]
	v_add_f64 v[122:123], v[12:13], v[122:123]
	v_add_f64 v[8:9], v[8:9], -v[116:117]
	v_mul_f64 v[116:117], v[194:195], s[0:1]
	v_add_f64 v[120:121], v[120:121], v[122:123]
	v_mul_f64 v[10:11], v[226:227], s[2:3]
	v_add_f64 v[116:117], v[116:117], -v[214:215]
	v_add_f64 v[118:119], v[118:119], v[120:121]
	v_add_f64 v[10:11], v[10:11], -v[246:247]
	v_add_f64 v[116:117], v[116:117], v[118:119]
	v_add_f64 v[4:5], v[4:5], v[6:7]
	v_mul_f64 v[6:7], v[142:143], s[20:21]
	v_add_f64 v[10:11], v[10:11], v[116:117]
	v_add_f64 v[6:7], v[6:7], -v[158:159]
	v_add_f64 v[8:9], v[8:9], v[10:11]
	v_accvgpr_read_b32 v10, a86
	v_add_f64 v[6:7], v[6:7], v[8:9]
	v_mul_f64 v[8:9], v[196:197], s[18:19]
	v_accvgpr_read_b32 v11, a87
	v_accvgpr_read_b32 v121, a63
	v_mul_f64 v[0:1], v[162:163], s[20:21]
	v_add_f64 v[8:9], v[10:11], v[8:9]
	v_mul_f64 v[10:11], v[170:171], s[24:25]
	v_accvgpr_read_b32 v120, a62
	v_accvgpr_read_b32 v123, a37
	v_add_f64 v[0:1], v[200:201], v[0:1]
	v_add_f64 v[10:11], v[120:121], v[10:11]
	v_mul_f64 v[120:121], v[148:149], s[20:21]
	v_accvgpr_read_b32 v122, a36
	v_accvgpr_read_b32 v129, a13
	v_add_f64 v[114:115], v[0:1], v[2:3]
	v_mul_f64 v[2:3], v[144:145], s[20:21]
	v_add_f64 v[120:121], v[122:123], v[120:121]
	v_mul_f64 v[122:123], v[132:133], s[2:3]
	v_accvgpr_read_b32 v128, a12
	v_add_f64 v[2:3], v[164:165], v[2:3]
	v_add_f64 v[122:123], v[128:129], v[122:123]
	;; [unrolled: 1-line block ×3, first 2 shown]
	v_mul_f64 v[4:5], v[160:161], s[10:11]
	v_add_f64 v[122:123], v[14:15], v[122:123]
	v_mul_f64 v[0:1], v[162:163], s[10:11]
	v_add_f64 v[4:5], v[4:5], -v[186:187]
	v_add_f64 v[120:121], v[120:121], v[122:123]
	v_add_f64 v[0:1], v[188:189], v[0:1]
	;; [unrolled: 1-line block ×3, first 2 shown]
	v_mul_f64 v[6:7], v[228:229], s[10:11]
	v_add_f64 v[10:11], v[10:11], v[120:121]
	v_accvgpr_read_b32 v177, a11
	v_add_f64 v[118:119], v[0:1], v[2:3]
	v_mul_f64 v[2:3], v[144:145], s[16:17]
	v_mul_f64 v[4:5], v[254:255], s[0:1]
	v_add_f64 v[6:7], v[240:241], v[6:7]
	v_mul_f64 v[128:129], v[130:131], s[0:1]
	v_mul_f64 v[120:121], v[130:131], s[10:11]
	v_mul_f64 v[130:131], v[130:131], s[2:3]
	v_add_f64 v[8:9], v[8:9], v[10:11]
	v_accvgpr_read_b32 v159, a79
	v_accvgpr_read_b32 v173, a31
	;; [unrolled: 1-line block ×3, first 2 shown]
	v_add_f64 v[2:3], v[156:157], v[2:3]
	v_add_f64 v[4:5], v[136:137], v[4:5]
	v_mul_f64 v[136:137], v[146:147], s[10:11]
	v_add_f64 v[6:7], v[6:7], v[8:9]
	v_mul_f64 v[10:11], v[146:147], s[16:17]
	v_mul_f64 v[146:147], v[146:147], s[20:21]
	;; [unrolled: 1-line block ×3, first 2 shown]
	v_accvgpr_read_b32 v158, a78
	v_accvgpr_read_b32 v165, a55
	;; [unrolled: 1-line block ×3, first 2 shown]
	v_add_f64 v[130:131], v[130:131], -v[176:177]
	v_mul_f64 v[8:9], v[148:149], s[10:11]
	v_add_f64 v[4:5], v[4:5], v[6:7]
	v_mul_f64 v[6:7], v[148:149], s[16:17]
	v_mul_f64 v[148:149], v[142:143], s[16:17]
	v_add_f64 v[156:157], v[156:157], -v[158:159]
	v_mul_f64 v[158:159], v[168:169], s[24:25]
	v_accvgpr_read_b32 v164, a54
	v_add_f64 v[146:147], v[146:147], -v[172:173]
	v_add_f64 v[130:131], v[12:13], v[130:131]
	v_add_f64 v[148:149], v[148:149], -v[150:151]
	v_mul_f64 v[150:151], v[252:253], s[0:1]
	v_add_f64 v[158:159], v[158:159], -v[164:165]
	v_add_f64 v[130:131], v[146:147], v[130:131]
	v_add_f64 v[124:125], v[150:151], -v[124:125]
	v_mul_f64 v[150:151], v[226:227], s[10:11]
	v_add_f64 v[130:131], v[158:159], v[130:131]
	v_add_f64 v[150:151], v[150:151], -v[232:233]
	v_add_f64 v[130:131], v[156:157], v[130:131]
	v_add_f64 v[130:131], v[150:151], v[130:131]
	v_mul_f64 v[0:1], v[162:163], s[22:23]
	v_add_f64 v[2:3], v[2:3], v[4:5]
	v_mul_f64 v[4:5], v[160:161], s[22:23]
	v_add_f64 v[124:125], v[124:125], v[130:131]
	v_add_f64 v[0:1], v[184:185], v[0:1]
	v_add_f64 v[4:5], v[4:5], -v[182:183]
	v_add_f64 v[124:125], v[148:149], v[124:125]
	v_mul_f64 v[188:189], v[254:255], s[18:19]
	v_mul_f64 v[148:149], v[142:143], s[22:23]
	v_add_f64 v[2:3], v[0:1], v[2:3]
	v_add_f64 v[0:1], v[4:5], v[124:125]
	v_mul_f64 v[4:5], v[142:143], s[2:3]
	v_mul_f64 v[142:143], v[144:145], s[2:3]
	v_add_f64 v[140:141], v[140:141], v[142:143]
	v_add_f64 v[142:143], v[248:249], v[188:189]
	v_accvgpr_read_b32 v189, a71
	v_mul_f64 v[180:181], v[196:197], s[24:25]
	v_accvgpr_read_b32 v188, a70
	v_add_f64 v[180:181], v[188:189], v[180:181]
	v_accvgpr_read_b32 v189, a49
	v_mul_f64 v[172:173], v[170:171], s[2:3]
	v_mul_f64 v[170:171], v[170:171], s[20:21]
	v_accvgpr_read_b32 v188, a48
	v_add_f64 v[170:171], v[188:189], v[170:171]
	v_accvgpr_read_b32 v189, a25
	v_accvgpr_read_b32 v188, a24
	v_add_f64 v[6:7], v[188:189], v[6:7]
	v_accvgpr_read_b32 v189, a9
	v_mul_f64 v[122:123], v[132:133], s[0:1]
	v_mul_f64 v[132:133], v[132:133], s[10:11]
	v_accvgpr_read_b32 v188, a8
	v_add_f64 v[132:133], v[188:189], v[132:133]
	v_add_f64 v[132:133], v[14:15], v[132:133]
	v_mul_f64 v[124:125], v[144:145], s[22:23]
	v_mul_f64 v[144:145], v[162:163], s[0:1]
	v_add_f64 v[6:7], v[6:7], v[132:133]
	v_mul_f64 v[184:185], v[228:229], s[22:23]
	v_add_f64 v[144:145], v[174:175], v[144:145]
	v_mul_f64 v[174:175], v[160:161], s[24:25]
	v_mul_f64 v[160:161], v[160:161], s[0:1]
	v_add_f64 v[6:7], v[170:171], v[6:7]
	v_add_f64 v[184:185], v[220:221], v[184:185]
	;; [unrolled: 1-line block ×3, first 2 shown]
	v_add_f64 v[132:133], v[160:161], -v[166:167]
	v_accvgpr_read_b32 v161, a21
	v_add_f64 v[6:7], v[184:185], v[6:7]
	v_accvgpr_read_b32 v160, a20
	v_add_f64 v[6:7], v[142:143], v[6:7]
	v_add_f64 v[10:11], v[10:11], -v[160:161]
	v_accvgpr_read_b32 v161, a7
	v_add_f64 v[6:7], v[140:141], v[6:7]
	v_accvgpr_read_b32 v160, a6
	v_add_f64 v[6:7], v[144:145], v[6:7]
	v_accvgpr_read_b32 v145, a45
	v_add_f64 v[120:121], v[120:121], -v[160:161]
	v_mul_f64 v[164:165], v[168:169], s[2:3]
	v_mul_f64 v[168:169], v[168:169], s[20:21]
	v_accvgpr_read_b32 v143, a67
	v_accvgpr_read_b32 v144, a44
	v_add_f64 v[120:121], v[12:13], v[120:121]
	v_mul_f64 v[178:179], v[194:195], s[24:25]
	v_accvgpr_read_b32 v141, a91
	v_accvgpr_read_b32 v142, a66
	v_add_f64 v[144:145], v[168:169], -v[144:145]
	v_add_f64 v[10:11], v[10:11], v[120:121]
	v_mul_f64 v[182:183], v[226:227], s[22:23]
	v_accvgpr_read_b32 v140, a90
	v_add_f64 v[142:143], v[178:179], -v[142:143]
	v_add_f64 v[10:11], v[144:145], v[10:11]
	v_mul_f64 v[186:187], v[252:253], s[18:19]
	v_add_f64 v[140:141], v[182:183], -v[140:141]
	v_add_f64 v[10:11], v[142:143], v[10:11]
	v_add_f64 v[4:5], v[4:5], -v[138:139]
	v_add_f64 v[138:139], v[186:187], -v[244:245]
	v_add_f64 v[10:11], v[140:141], v[10:11]
	v_add_f64 v[10:11], v[138:139], v[10:11]
	v_accvgpr_read_b32 v139, a17
	v_accvgpr_read_b32 v138, a16
	v_add_f64 v[8:9], v[138:139], v[8:9]
	v_accvgpr_read_b32 v139, a5
	v_accvgpr_read_b32 v138, a4
	v_add_f64 v[120:121], v[134:135], v[124:125]
	v_accvgpr_read_b32 v135, a41
	v_add_f64 v[122:123], v[138:139], v[122:123]
	;; [unrolled: 2-line block ×3, first 2 shown]
	v_add_f64 v[134:135], v[134:135], v[172:173]
	v_add_f64 v[8:9], v[8:9], v[122:123]
	;; [unrolled: 1-line block ×3, first 2 shown]
	v_accvgpr_read_b32 v135, a3
	v_accvgpr_read_b32 v134, a2
	v_add_f64 v[128:129], v[128:129], -v[134:135]
	v_add_f64 v[128:129], v[12:13], v[128:129]
	v_add_f64 v[14:15], v[14:15], v[18:19]
	;; [unrolled: 1-line block ×8, first 2 shown]
	v_mul_f64 v[130:131], v[254:255], s[20:21]
	v_add_f64 v[4:5], v[132:133], v[4:5]
	v_accvgpr_read_b32 v133, a65
	v_add_f64 v[14:15], v[14:15], v[30:31]
	v_add_f64 v[12:13], v[12:13], v[28:29]
	v_mul_f64 v[146:147], v[196:197], s[16:17]
	v_add_f64 v[124:125], v[242:243], v[130:131]
	v_accvgpr_read_b32 v131, a89
	v_accvgpr_read_b32 v132, a64
	v_add_f64 v[14:15], v[14:15], v[34:35]
	v_add_f64 v[12:13], v[12:13], v[32:33]
	v_mul_f64 v[156:157], v[228:229], s[18:19]
	v_accvgpr_read_b32 v130, a88
	v_add_f64 v[132:133], v[132:133], v[146:147]
	v_add_f64 v[14:15], v[14:15], v[38:39]
	;; [unrolled: 1-line block ×8, first 2 shown]
	v_accvgpr_read_b32 v133, a15
	v_add_f64 v[14:15], v[14:15], v[46:47]
	v_add_f64 v[12:13], v[12:13], v[44:45]
	v_add_f64 v[8:9], v[124:125], v[8:9]
	v_accvgpr_read_b32 v131, a35
	v_accvgpr_read_b32 v132, a14
	v_add_f64 v[14:15], v[14:15], v[50:51]
	v_add_f64 v[12:13], v[12:13], v[48:49]
	;; [unrolled: 1-line block ×3, first 2 shown]
	v_add_f64 v[120:121], v[148:149], -v[126:127]
	v_accvgpr_read_b32 v127, a59
	v_accvgpr_read_b32 v130, a34
	v_add_f64 v[132:133], v[136:137], -v[132:133]
	v_add_f64 v[14:15], v[14:15], v[54:55]
	v_add_f64 v[12:13], v[12:13], v[52:53]
	v_mul_f64 v[176:177], v[194:195], s[16:17]
	v_accvgpr_read_b32 v125, a83
	v_accvgpr_read_b32 v126, a58
	v_add_f64 v[130:131], v[164:165], -v[130:131]
	v_add_f64 v[128:129], v[132:133], v[128:129]
	v_add_f64 v[14:15], v[14:15], v[58:59]
	;; [unrolled: 1-line block ×3, first 2 shown]
	v_mul_f64 v[158:159], v[226:227], s[18:19]
	v_accvgpr_read_b32 v124, a82
	v_add_f64 v[126:127], v[176:177], -v[126:127]
	v_add_f64 v[128:129], v[130:131], v[128:129]
	v_add_f64 v[14:15], v[14:15], v[62:63]
	;; [unrolled: 1-line block ×3, first 2 shown]
	v_mul_f64 v[150:151], v[252:253], s[20:21]
	v_add_f64 v[124:125], v[158:159], -v[124:125]
	v_add_f64 v[126:127], v[126:127], v[128:129]
	v_add_f64 v[14:15], v[14:15], v[66:67]
	;; [unrolled: 1-line block ×3, first 2 shown]
	v_mul_f64 v[162:163], v[162:163], s[24:25]
	v_add_f64 v[122:123], v[150:151], -v[238:239]
	v_add_f64 v[124:125], v[124:125], v[126:127]
	v_add_f64 v[14:15], v[14:15], v[70:71]
	;; [unrolled: 1-line block ×8, first 2 shown]
	v_add_f64 v[8:9], v[174:175], -v[152:153]
	v_add_f64 v[120:121], v[120:121], v[122:123]
	v_add_f64 v[14:15], v[14:15], v[78:79]
	;; [unrolled: 1-line block ×3, first 2 shown]
	v_lshlrev_b32_e32 v16, 4, v212
	v_add_f64 v[8:9], v[8:9], v[120:121]
	ds_write_b128 v16, v[12:15]
	ds_write_b128 v16, v[8:11] offset:16
	ds_write_b128 v16, v[4:7] offset:32
	;; [unrolled: 1-line block ×16, first 2 shown]
.LBB0_7:
	s_or_b64 exec, exec, s[26:27]
	s_waitcnt lgkmcnt(0)
	s_barrier
	ds_read_b128 v[60:63], v216
	ds_read_b128 v[112:115], v216 offset:3536
	ds_read_b128 v[108:111], v216 offset:7072
	;; [unrolled: 1-line block ×6, first 2 shown]
	s_movk_i32 s0, 0x66
	v_cmp_gt_u16_e64 s[2:3], s0, v217
	s_and_saveexec_b64 s[0:1], s[2:3]
	s_cbranch_execz .LBB0_9
; %bb.8:
	ds_read_b128 v[88:91], v216 offset:1904
	ds_read_b128 v[100:103], v216 offset:5440
	;; [unrolled: 1-line block ×7, first 2 shown]
.LBB0_9:
	s_or_b64 exec, exec, s[0:1]
	s_movk_i32 s0, 0xf1
	v_mul_lo_u16_sdwa v0, v217, s0 dst_sel:DWORD dst_unused:UNUSED_PAD src0_sel:BYTE_0 src1_sel:DWORD
	v_lshrrev_b16_e32 v36, 12, v0
	v_mul_lo_u16_e32 v0, 17, v36
	v_sub_u16_e32 v0, v217, v0
	v_and_b32_e32 v37, 0xff, v0
	v_mul_u32_u24_e32 v0, 6, v37
	v_lshlrev_b32_e32 v0, 4, v0
	global_load_dwordx4 v[136:139], v0, s[6:7] offset:16
	global_load_dwordx4 v[144:147], v0, s[6:7]
	global_load_dwordx4 v[132:135], v0, s[6:7] offset:48
	global_load_dwordx4 v[140:143], v0, s[6:7] offset:32
	;; [unrolled: 1-line block ×4, first 2 shown]
	v_add_u16_e32 v0, 0x77, v217
	v_mul_lo_u16_sdwa v1, v0, s0 dst_sel:DWORD dst_unused:UNUSED_PAD src0_sel:BYTE_0 src1_sel:DWORD
	v_lshrrev_b16_e32 v213, 12, v1
	v_mul_lo_u16_e32 v1, 17, v213
	v_sub_u16_e32 v0, v0, v1
	v_and_b32_e32 v0, 0xff, v0
	v_accvgpr_write_b32 a2, v0
	v_mul_u32_u24_e32 v0, 6, v0
	v_lshlrev_b32_e32 v0, 4, v0
	global_load_dwordx4 v[38:41], v0, s[6:7]
	global_load_dwordx4 v[54:57], v0, s[6:7] offset:16
	global_load_dwordx4 v[50:53], v0, s[6:7] offset:32
	;; [unrolled: 1-line block ×5, first 2 shown]
	s_mov_b32 s24, 0x37e14327
	s_mov_b32 s20, 0xe976ee23
	;; [unrolled: 1-line block ×18, first 2 shown]
	s_load_dwordx4 s[8:11], s[8:9], 0x0
	v_mul_u32_u24_e32 v36, 0x77, v36
	v_add_lshl_u32 v58, v36, v37, 4
	s_waitcnt lgkmcnt(0)
	s_barrier
	s_waitcnt vmcnt(11)
	v_mul_f64 v[4:5], v[110:111], v[138:139]
	s_waitcnt vmcnt(10)
	v_mul_f64 v[0:1], v[114:115], v[146:147]
	v_mul_f64 v[2:3], v[112:113], v[146:147]
	;; [unrolled: 1-line block ×3, first 2 shown]
	s_waitcnt vmcnt(7)
	v_mul_f64 v[20:21], v[66:67], v[150:151]
	s_waitcnt vmcnt(6)
	v_mul_f64 v[16:17], v[70:71], v[154:155]
	v_mul_f64 v[8:9], v[78:79], v[142:143]
	;; [unrolled: 1-line block ×5, first 2 shown]
	v_fma_f64 v[0:1], v[112:113], v[144:145], -v[0:1]
	v_fma_f64 v[4:5], v[108:109], v[136:137], -v[4:5]
	;; [unrolled: 1-line block ×4, first 2 shown]
	v_mul_f64 v[10:11], v[76:77], v[142:143]
	v_mul_f64 v[14:15], v[72:73], v[134:135]
	v_fmac_f64_e32 v[2:3], v[114:115], v[144:145]
	v_fmac_f64_e32 v[6:7], v[110:111], v[136:137]
	v_fma_f64 v[8:9], v[76:77], v[140:141], -v[8:9]
	v_fma_f64 v[12:13], v[72:73], v[132:133], -v[12:13]
	v_fmac_f64_e32 v[18:19], v[70:71], v[152:153]
	v_fmac_f64_e32 v[22:23], v[66:67], v[148:149]
	v_add_f64 v[70:71], v[0:1], v[20:21]
	v_add_f64 v[0:1], v[0:1], -v[20:21]
	v_add_f64 v[20:21], v[4:5], v[16:17]
	v_fmac_f64_e32 v[10:11], v[78:79], v[140:141]
	v_fmac_f64_e32 v[14:15], v[74:75], v[132:133]
	v_add_f64 v[72:73], v[2:3], v[22:23]
	v_add_f64 v[2:3], v[2:3], -v[22:23]
	v_add_f64 v[22:23], v[6:7], v[18:19]
	v_add_f64 v[4:5], v[4:5], -v[16:17]
	;; [unrolled: 2-line block ×3, first 2 shown]
	v_add_f64 v[12:13], v[20:21], v[70:71]
	s_waitcnt vmcnt(1)
	v_mul_f64 v[120:121], v[86:87], v[44:45]
	s_waitcnt vmcnt(0)
	v_mul_f64 v[124:125], v[82:83], v[130:131]
	v_mul_f64 v[126:127], v[80:81], v[130:131]
	v_add_f64 v[6:7], v[6:7], -v[18:19]
	v_add_f64 v[18:19], v[10:11], v[14:15]
	v_add_f64 v[10:11], v[14:15], -v[10:11]
	v_add_f64 v[14:15], v[22:23], v[72:73]
	v_add_f64 v[76:77], v[8:9], v[4:5]
	;; [unrolled: 1-line block ×3, first 2 shown]
	v_mul_f64 v[122:123], v[84:85], v[44:45]
	v_fma_f64 v[66:67], v[84:85], v[42:43], -v[120:121]
	v_fma_f64 v[68:69], v[80:81], v[128:129], -v[124:125]
	v_fmac_f64_e32 v[126:127], v[82:83], v[128:129]
	v_add_f64 v[74:75], v[20:21], -v[70:71]
	v_add_f64 v[80:81], v[22:23], -v[72:73]
	;; [unrolled: 1-line block ×4, first 2 shown]
	v_add_f64 v[78:79], v[10:11], v[6:7]
	v_add_f64 v[82:83], v[8:9], -v[4:5]
	v_add_f64 v[84:85], v[10:11], -v[6:7]
	;; [unrolled: 1-line block ×5, first 2 shown]
	v_add_f64 v[14:15], v[18:19], v[14:15]
	v_add_f64 v[0:1], v[76:77], v[0:1]
	;; [unrolled: 1-line block ×3, first 2 shown]
	v_fmac_f64_e32 v[122:123], v[86:87], v[42:43]
	v_add_f64 v[20:21], v[16:17], -v[20:21]
	v_add_f64 v[22:23], v[18:19], -v[22:23]
	;; [unrolled: 1-line block ×3, first 2 shown]
	v_add_f64 v[2:3], v[78:79], v[2:3]
	v_add_f64 v[78:79], v[62:63], v[14:15]
	v_mul_f64 v[16:17], v[70:71], s[24:25]
	v_mul_f64 v[18:19], v[72:73], s[24:25]
	;; [unrolled: 1-line block ×6, first 2 shown]
	v_mov_b64_e32 v[86:87], v[76:77]
	v_mul_f64 v[60:61], v[20:21], s[18:19]
	v_mul_f64 v[62:63], v[22:23], s[18:19]
	v_fmac_f64_e32 v[86:87], s[28:29], v[12:13]
	v_mov_b64_e32 v[12:13], v[78:79]
	v_fma_f64 v[4:5], v[4:5], s[0:1], -v[70:71]
	v_fmac_f64_e32 v[70:71], s[30:31], v[8:9]
	v_fma_f64 v[6:7], v[6:7], s[0:1], -v[72:73]
	v_fmac_f64_e32 v[72:73], s[30:31], v[10:11]
	v_fma_f64 v[8:9], v[8:9], s[26:27], -v[82:83]
	v_fma_f64 v[10:11], v[10:11], s[26:27], -v[84:85]
	s_mov_b32 s26, 0x37c3f68c
	v_mul_f64 v[24:25], v[102:103], v[40:41]
	v_mul_f64 v[26:27], v[100:101], v[40:41]
	;; [unrolled: 1-line block ×4, first 2 shown]
	v_fmac_f64_e32 v[12:13], s[28:29], v[14:15]
	v_fma_f64 v[14:15], v[74:75], s[16:17], -v[60:61]
	v_fma_f64 v[60:61], v[80:81], s[16:17], -v[62:63]
	;; [unrolled: 1-line block ×3, first 2 shown]
	v_fmac_f64_e32 v[16:17], s[18:19], v[20:21]
	v_fma_f64 v[20:21], v[80:81], s[22:23], -v[18:19]
	v_fmac_f64_e32 v[18:19], s[18:19], v[22:23]
	s_mov_b32 s27, 0x3fdc38aa
	v_mul_f64 v[32:33], v[98:99], v[52:53]
	v_mul_f64 v[34:35], v[96:97], v[52:53]
	;; [unrolled: 1-line block ×4, first 2 shown]
	v_fma_f64 v[24:25], v[100:101], v[38:39], -v[24:25]
	v_fmac_f64_e32 v[26:27], v[102:103], v[38:39]
	v_fma_f64 v[28:29], v[104:105], v[54:55], -v[28:29]
	v_fmac_f64_e32 v[30:31], v[106:107], v[54:55]
	v_add_f64 v[16:17], v[16:17], v[86:87]
	v_add_f64 v[18:19], v[18:19], v[12:13]
	;; [unrolled: 1-line block ×4, first 2 shown]
	v_fmac_f64_e32 v[70:71], s[26:27], v[0:1]
	v_fmac_f64_e32 v[72:73], s[26:27], v[2:3]
	;; [unrolled: 1-line block ×3, first 2 shown]
	v_fma_f64 v[32:33], v[96:97], v[50:51], -v[32:33]
	v_fmac_f64_e32 v[34:35], v[98:99], v[50:51]
	v_fma_f64 v[64:65], v[92:93], v[46:47], -v[116:117]
	v_fmac_f64_e32 v[118:119], v[94:95], v[46:47]
	v_add_f64 v[14:15], v[14:15], v[86:87]
	v_add_f64 v[12:13], v[20:21], v[12:13]
	v_fmac_f64_e32 v[4:5], s[26:27], v[0:1]
	v_fmac_f64_e32 v[6:7], s[26:27], v[2:3]
	;; [unrolled: 1-line block ×3, first 2 shown]
	v_add_f64 v[80:81], v[72:73], v[16:17]
	v_add_f64 v[82:83], v[18:19], -v[70:71]
	v_add_f64 v[84:85], v[10:11], v[60:61]
	v_add_f64 v[100:101], v[60:61], -v[10:11]
	v_add_f64 v[104:105], v[16:17], -v[72:73]
	v_add_f64 v[106:107], v[70:71], v[18:19]
	v_add_f64 v[0:1], v[24:25], v[68:69]
	;; [unrolled: 1-line block ×5, first 2 shown]
	v_add_f64 v[86:87], v[12:13], -v[8:9]
	v_add_f64 v[92:93], v[14:15], -v[6:7]
	v_add_f64 v[94:95], v[4:5], v[22:23]
	v_add_f64 v[96:97], v[6:7], v[14:15]
	v_add_f64 v[98:99], v[22:23], -v[4:5]
	v_add_f64 v[102:103], v[8:9], v[12:13]
	v_add_f64 v[20:21], v[24:25], -v[68:69]
	v_add_f64 v[2:3], v[26:27], -v[126:127]
	;; [unrolled: 1-line block ×4, first 2 shown]
	v_add_f64 v[4:5], v[32:33], v[64:65]
	v_add_f64 v[6:7], v[34:35], v[118:119]
	v_add_f64 v[8:9], v[64:65], -v[32:33]
	v_add_f64 v[14:15], v[118:119], -v[34:35]
	v_add_f64 v[22:23], v[10:11], v[0:1]
	v_add_f64 v[26:27], v[18:19], v[16:17]
	v_add_f64 v[28:29], v[0:1], -v[4:5]
	v_add_f64 v[30:31], v[16:17], -v[6:7]
	;; [unrolled: 1-line block ×4, first 2 shown]
	v_add_f64 v[60:61], v[8:9], v[24:25]
	v_add_f64 v[62:63], v[14:15], v[12:13]
	v_add_f64 v[64:65], v[8:9], -v[24:25]
	v_add_f64 v[66:67], v[14:15], -v[12:13]
	;; [unrolled: 1-line block ×4, first 2 shown]
	v_add_f64 v[4:5], v[4:5], v[22:23]
	v_add_f64 v[6:7], v[6:7], v[26:27]
	;; [unrolled: 1-line block ×6, first 2 shown]
	v_mul_f64 v[28:29], v[28:29], s[24:25]
	v_mul_f64 v[68:69], v[30:31], s[24:25]
	;; [unrolled: 1-line block ×4, first 2 shown]
	v_fma_f64 v[22:23], s[28:29], v[4:5], v[60:61]
	v_fma_f64 v[26:27], s[28:29], v[6:7], v[62:63]
	;; [unrolled: 1-line block ×6, first 2 shown]
	v_accvgpr_write_b32 a40, v144
	v_accvgpr_write_b32 a32, v136
	v_accvgpr_write_b32 a36, v140
	v_accvgpr_write_b32 a28, v132
	v_accvgpr_write_b32 a48, v152
	v_accvgpr_write_b32 a44, v148
	v_accvgpr_write_b32 a16, v38
	v_accvgpr_write_b32 a20, v42
	v_accvgpr_write_b32 a24, v128
	v_add_f64 v[6:7], v[6:7], v[22:23]
	v_add_f64 v[14:15], v[14:15], v[26:27]
	v_fmac_f64_e32 v[8:9], s[26:27], v[72:73]
	v_fmac_f64_e32 v[4:5], s[26:27], v[74:75]
	v_accvgpr_write_b32 a41, v145
	v_accvgpr_write_b32 a42, v146
	;; [unrolled: 1-line block ×27, first 2 shown]
	v_add_f64 v[108:109], v[6:7], -v[4:5]
	v_add_f64 v[110:111], v[8:9], v[14:15]
	ds_write_b128 v58, v[76:79]
	ds_write_b128 v58, v[80:83] offset:272
	ds_write_b128 v58, v[84:87] offset:544
	ds_write_b128 v58, v[92:95] offset:816
	ds_write_b128 v58, v[96:99] offset:1088
	ds_write_b128 v58, v[100:103] offset:1360
	ds_write_b128 v58, v[104:107] offset:1632
	s_and_saveexec_b64 s[24:25], s[2:3]
	s_cbranch_execz .LBB0_11
; %bb.10:
	v_add_f64 v[0:1], v[10:11], -v[0:1]
	v_fma_f64 v[10:11], v[0:1], s[22:23], -v[28:29]
	v_mul_f64 v[32:33], v[32:33], s[18:19]
	v_mul_f64 v[34:35], v[34:35], s[18:19]
	v_add_f64 v[20:21], v[24:25], -v[20:21]
	s_mov_b32 s19, 0xbfebfeb5
	s_mov_b32 s18, s0
	v_add_f64 v[28:29], v[10:11], v[22:23]
	v_add_f64 v[10:11], v[12:13], -v[2:3]
	v_mul_f64 v[74:75], v[74:75], s[26:27]
	v_fma_f64 v[24:25], v[20:21], s[18:19], -v[70:71]
	v_add_f64 v[70:71], v[18:19], -v[16:17]
	v_fma_f64 v[2:3], v[10:11], s[18:19], -v[30:31]
	v_mul_f64 v[64:65], v[64:65], s[20:21]
	v_mul_f64 v[66:67], v[66:67], s[20:21]
	v_add_f64 v[30:31], v[74:75], v[2:3]
	v_fma_f64 v[2:3], v[70:71], s[16:17], -v[34:35]
	v_fma_f64 v[0:1], v[0:1], s[16:17], -v[32:33]
	v_mul_f64 v[72:73], v[72:73], s[26:27]
	v_fma_f64 v[16:17], v[70:71], s[22:23], -v[68:69]
	v_add_f64 v[12:13], v[2:3], v[26:27]
	v_fma_f64 v[2:3], v[20:21], s[0:1], -v[64:65]
	v_add_f64 v[22:23], v[0:1], v[22:23]
	;; [unrolled: 2-line block ×3, first 2 shown]
	v_mul_u32_u24_e32 v4, 0x77, v213
	v_accvgpr_read_b32 v5, a2
	v_add_f64 v[24:25], v[72:73], v[24:25]
	v_add_f64 v[68:69], v[16:17], v[26:27]
	;; [unrolled: 1-line block ×4, first 2 shown]
	v_add_lshl_u32 v4, v4, v5, 4
	v_add_f64 v[18:19], v[24:25], v[68:69]
	v_add_f64 v[16:17], v[28:29], -v[30:31]
	v_add_f64 v[2:3], v[12:13], -v[20:21]
	v_add_f64 v[0:1], v[10:11], v[22:23]
	v_add_f64 v[12:13], v[20:21], v[12:13]
	v_add_f64 v[10:11], v[22:23], -v[10:11]
	v_add_f64 v[22:23], v[68:69], -v[24:25]
	v_add_f64 v[20:21], v[30:31], v[28:29]
	v_add_f64 v[8:9], v[14:15], -v[8:9]
	ds_write_b128 v4, v[60:63]
	ds_write_b128 v4, v[6:9] offset:272
	ds_write_b128 v4, v[20:23] offset:544
	;; [unrolled: 1-line block ×6, first 2 shown]
.LBB0_11:
	s_or_b64 exec, exec, s[24:25]
	s_movk_i32 s0, 0xc0
	v_mov_b64_e32 v[0:1], s[6:7]
	v_mad_u64_u32 v[0:1], s[0:1], v217, s0, v[0:1]
	s_waitcnt lgkmcnt(0)
	s_barrier
	global_load_dwordx4 v[62:65], v[0:1], off offset:1632
	global_load_dwordx4 v[40:43], v[0:1], off offset:1648
	;; [unrolled: 1-line block ×12, first 2 shown]
	ds_read_b128 v[30:33], v216
	ds_read_b128 v[4:7], v216 offset:1904
	ds_read_b128 v[12:15], v216 offset:3808
	;; [unrolled: 1-line block ×12, first 2 shown]
	s_mov_b32 s28, 0x42a4c3d2
	s_mov_b32 s38, 0x66966769
	;; [unrolled: 1-line block ×30, first 2 shown]
	s_waitcnt vmcnt(11) lgkmcnt(11)
	v_mul_f64 v[28:29], v[6:7], v[64:65]
	s_waitcnt vmcnt(10) lgkmcnt(10)
	v_mul_f64 v[148:149], v[14:15], v[42:43]
	;; [unrolled: 2-line block ×4, first 2 shown]
	v_fma_f64 v[176:177], v[4:5], v[62:63], -v[28:29]
	v_mul_f64 v[34:35], v[4:5], v[64:65]
	v_mul_f64 v[24:25], v[20:21], v[38:39]
	;; [unrolled: 1-line block ×3, first 2 shown]
	v_fma_f64 v[148:149], v[12:13], v[40:41], -v[148:149]
	v_fma_f64 v[28:29], v[20:21], v[36:37], -v[152:153]
	;; [unrolled: 1-line block ×3, first 2 shown]
	v_add_f64 v[112:113], v[30:31], v[176:177]
	v_mul_f64 v[150:151], v[12:13], v[42:43]
	v_fmac_f64_e32 v[34:35], v[6:7], v[62:63]
	v_add_f64 v[112:113], v[112:113], v[148:149]
	s_waitcnt vmcnt(7) lgkmcnt(7)
	v_mul_f64 v[156:157], v[118:119], v[90:91]
	v_fmac_f64_e32 v[150:151], v[14:15], v[40:41]
	v_fmac_f64_e32 v[16:17], v[114:115], v[68:69]
	v_add_f64 v[114:115], v[32:33], v[34:35]
	v_add_f64 v[112:113], v[112:113], v[28:29]
	s_waitcnt vmcnt(6) lgkmcnt(6)
	v_mul_f64 v[158:159], v[122:123], v[86:87]
	v_fmac_f64_e32 v[24:25], v[22:23], v[36:37]
	v_fma_f64 v[12:13], v[116:117], v[88:89], -v[156:157]
	v_add_f64 v[114:115], v[114:115], v[150:151]
	v_add_f64 v[112:113], v[112:113], v[20:21]
	v_mul_f64 v[8:9], v[116:117], v[90:91]
	s_waitcnt vmcnt(5) lgkmcnt(5)
	v_mul_f64 v[160:161], v[126:127], v[82:83]
	v_fma_f64 v[4:5], v[120:121], v[84:85], -v[158:159]
	v_add_f64 v[114:115], v[114:115], v[24:25]
	v_add_f64 v[112:113], v[112:113], v[12:13]
	v_mul_f64 v[0:1], v[120:121], v[86:87]
	s_waitcnt vmcnt(4) lgkmcnt(4)
	v_mul_f64 v[162:163], v[130:131], v[78:79]
	v_fmac_f64_e32 v[8:9], v[118:119], v[88:89]
	v_fma_f64 v[6:7], v[124:125], v[80:81], -v[160:161]
	v_add_f64 v[114:115], v[114:115], v[16:17]
	v_add_f64 v[112:113], v[112:113], v[4:5]
	v_mul_f64 v[2:3], v[124:125], v[82:83]
	s_waitcnt vmcnt(3) lgkmcnt(3)
	v_mul_f64 v[164:165], v[134:135], v[106:107]
	v_fmac_f64_e32 v[0:1], v[122:123], v[84:85]
	;; [unrolled: 7-line block ×3, first 2 shown]
	v_fma_f64 v[22:23], v[132:133], v[104:105], -v[164:165]
	v_add_f64 v[114:115], v[114:115], v[0:1]
	v_add_f64 v[112:113], v[112:113], v[14:15]
	v_mul_f64 v[18:19], v[132:133], v[106:107]
	s_waitcnt vmcnt(1) lgkmcnt(1)
	v_mul_f64 v[168:169], v[142:143], v[98:99]
	s_waitcnt vmcnt(0) lgkmcnt(0)
	v_mul_f64 v[174:175], v[144:145], v[94:95]
	v_fmac_f64_e32 v[10:11], v[130:131], v[76:77]
	v_fma_f64 v[116:117], v[136:137], v[100:101], -v[166:167]
	v_add_f64 v[114:115], v[114:115], v[2:3]
	v_add_f64 v[112:113], v[112:113], v[22:23]
	v_mul_f64 v[26:27], v[136:137], v[102:103]
	v_mul_f64 v[172:173], v[146:147], v[94:95]
	v_fmac_f64_e32 v[18:19], v[134:135], v[104:105]
	v_fma_f64 v[118:119], v[140:141], v[96:97], -v[168:169]
	v_fmac_f64_e32 v[174:175], v[146:147], v[92:93]
	v_add_f64 v[114:115], v[114:115], v[10:11]
	v_add_f64 v[112:113], v[112:113], v[116:117]
	v_mul_f64 v[170:171], v[140:141], v[98:99]
	v_fmac_f64_e32 v[26:27], v[138:139], v[100:101]
	v_fma_f64 v[120:121], v[144:145], v[92:93], -v[172:173]
	v_add_f64 v[114:115], v[114:115], v[18:19]
	v_add_f64 v[112:113], v[112:113], v[118:119]
	;; [unrolled: 1-line block ×3, first 2 shown]
	v_add_f64 v[34:35], v[34:35], -v[174:175]
	v_fmac_f64_e32 v[170:171], v[142:143], v[96:97]
	v_add_f64 v[114:115], v[114:115], v[26:27]
	v_add_f64 v[112:113], v[112:113], v[120:121]
	;; [unrolled: 1-line block ×3, first 2 shown]
	v_add_f64 v[120:121], v[176:177], -v[120:121]
	v_mul_f64 v[126:127], v[34:35], s[18:19]
	v_mul_f64 v[134:135], v[34:35], s[28:29]
	;; [unrolled: 1-line block ×6, first 2 shown]
	v_add_f64 v[114:115], v[114:115], v[170:171]
	v_fma_f64 v[128:129], v[122:123], s[16:17], -v[126:127]
	v_mul_f64 v[130:131], v[120:121], s[18:19]
	v_fmac_f64_e32 v[126:127], s[16:17], v[122:123]
	v_fma_f64 v[136:137], v[122:123], s[6:7], -v[134:135]
	v_mul_f64 v[138:139], v[120:121], s[28:29]
	v_fmac_f64_e32 v[134:135], s[6:7], v[122:123]
	;; [unrolled: 3-line block ×6, first 2 shown]
	v_add_f64 v[114:115], v[114:115], v[174:175]
	v_add_f64 v[128:129], v[30:31], v[128:129]
	v_fma_f64 v[132:133], s[16:17], v[124:125], v[130:131]
	v_add_f64 v[126:127], v[30:31], v[126:127]
	v_fma_f64 v[130:131], v[124:125], s[16:17], -v[130:131]
	v_add_f64 v[136:137], v[30:31], v[136:137]
	v_fma_f64 v[140:141], s[6:7], v[124:125], v[138:139]
	v_add_f64 v[134:135], v[30:31], v[134:135]
	v_fma_f64 v[138:139], v[124:125], s[6:7], -v[138:139]
	;; [unrolled: 4-line block ×6, first 2 shown]
	v_add_f64 v[122:123], v[150:151], -v[170:171]
	v_add_f64 v[132:133], v[32:33], v[132:133]
	v_add_f64 v[130:131], v[32:33], v[130:131]
	v_add_f64 v[140:141], v[32:33], v[140:141]
	v_add_f64 v[138:139], v[32:33], v[138:139]
	v_add_f64 v[152:153], v[32:33], v[152:153]
	v_add_f64 v[146:147], v[32:33], v[146:147]
	v_add_f64 v[160:161], v[32:33], v[160:161]
	v_add_f64 v[158:159], v[32:33], v[158:159]
	v_add_f64 v[168:169], v[32:33], v[168:169]
	v_add_f64 v[166:167], v[32:33], v[166:167]
	v_add_f64 v[174:175], v[32:33], v[174:175]
	v_add_f64 v[32:33], v[32:33], v[34:35]
	v_add_f64 v[34:35], v[148:149], v[118:119]
	v_mul_f64 v[124:125], v[122:123], s[28:29]
	v_add_f64 v[118:119], v[148:149], -v[118:119]
	v_fma_f64 v[148:149], v[34:35], s[6:7], -v[124:125]
	v_add_f64 v[120:121], v[150:151], v[170:171]
	v_add_f64 v[128:129], v[148:149], v[128:129]
	v_mul_f64 v[148:149], v[118:119], s[28:29]
	v_fmac_f64_e32 v[124:125], s[6:7], v[34:35]
	v_add_f64 v[124:125], v[124:125], v[126:127]
	v_fma_f64 v[126:127], v[120:121], s[6:7], -v[148:149]
	v_add_f64 v[126:127], v[126:127], v[130:131]
	v_mul_f64 v[130:131], v[122:123], s[22:23]
	v_fma_f64 v[150:151], s[6:7], v[120:121], v[148:149]
	v_fma_f64 v[148:149], v[34:35], s[20:21], -v[130:131]
	v_add_f64 v[136:137], v[148:149], v[136:137]
	v_mul_f64 v[148:149], v[118:119], s[22:23]
	v_fmac_f64_e32 v[130:131], s[20:21], v[34:35]
	v_add_f64 v[130:131], v[130:131], v[134:135]
	v_fma_f64 v[134:135], v[120:121], s[20:21], -v[148:149]
	v_add_f64 v[134:135], v[134:135], v[138:139]
	v_mul_f64 v[138:139], v[122:123], s[36:37]
	v_add_f64 v[132:133], v[150:151], v[132:133]
	v_fma_f64 v[150:151], s[20:21], v[120:121], v[148:149]
	v_fma_f64 v[148:149], v[34:35], s[34:35], -v[138:139]
	v_add_f64 v[144:145], v[148:149], v[144:145]
	v_mul_f64 v[148:149], v[118:119], s[36:37]
	v_fmac_f64_e32 v[138:139], s[34:35], v[34:35]
	v_add_f64 v[138:139], v[138:139], v[142:143]
	v_fma_f64 v[142:143], v[120:121], s[34:35], -v[148:149]
	v_add_f64 v[140:141], v[150:151], v[140:141]
	v_fma_f64 v[150:151], s[34:35], v[120:121], v[148:149]
	v_add_f64 v[142:143], v[142:143], v[146:147]
	v_mul_f64 v[146:147], v[122:123], s[40:41]
	v_add_f64 v[150:151], v[150:151], v[152:153]
	v_fma_f64 v[148:149], v[34:35], s[24:25], -v[146:147]
	v_mul_f64 v[152:153], v[118:119], s[40:41]
	v_fmac_f64_e32 v[146:147], s[24:25], v[34:35]
	v_add_f64 v[148:149], v[148:149], v[156:157]
	v_fma_f64 v[156:157], s[24:25], v[120:121], v[152:153]
	v_add_f64 v[146:147], v[146:147], v[154:155]
	v_fma_f64 v[152:153], v[120:121], s[24:25], -v[152:153]
	v_mul_f64 v[154:155], v[122:123], s[30:31]
	v_add_f64 v[156:157], v[156:157], v[160:161]
	v_add_f64 v[152:153], v[152:153], v[158:159]
	v_fma_f64 v[158:159], v[34:35], s[0:1], -v[154:155]
	v_mul_f64 v[160:161], v[118:119], s[30:31]
	s_mov_b32 s19, 0x3fddbe06
	v_add_f64 v[158:159], v[158:159], v[164:165]
	v_fma_f64 v[164:165], s[0:1], v[120:121], v[160:161]
	v_fmac_f64_e32 v[154:155], s[0:1], v[34:35]
	v_fma_f64 v[160:161], v[120:121], s[0:1], -v[160:161]
	v_mul_f64 v[122:123], v[122:123], s[18:19]
	v_mul_f64 v[118:119], v[118:119], s[18:19]
	v_add_f64 v[154:155], v[154:155], v[162:163]
	v_add_f64 v[160:161], v[160:161], v[166:167]
	v_fma_f64 v[162:163], v[34:35], s[16:17], -v[122:123]
	v_fma_f64 v[166:167], s[16:17], v[120:121], v[118:119]
	v_fmac_f64_e32 v[122:123], s[16:17], v[34:35]
	v_fma_f64 v[34:35], v[120:121], s[16:17], -v[118:119]
	v_add_f64 v[118:119], v[24:25], v[26:27]
	v_add_f64 v[24:25], v[24:25], -v[26:27]
	v_add_f64 v[32:33], v[34:35], v[32:33]
	v_add_f64 v[34:35], v[28:29], v[116:117]
	v_add_f64 v[28:29], v[28:29], -v[116:117]
	v_mul_f64 v[26:27], v[24:25], s[38:39]
	v_fma_f64 v[116:117], v[34:35], s[0:1], -v[26:27]
	v_mul_f64 v[120:121], v[28:29], s[38:39]
	v_fmac_f64_e32 v[26:27], s[0:1], v[34:35]
	v_add_f64 v[30:31], v[122:123], v[30:31]
	v_fma_f64 v[122:123], s[0:1], v[118:119], v[120:121]
	v_add_f64 v[26:27], v[26:27], v[124:125]
	v_fma_f64 v[120:121], v[118:119], s[0:1], -v[120:121]
	v_mul_f64 v[124:125], v[24:25], s[36:37]
	v_add_f64 v[116:117], v[116:117], v[128:129]
	v_add_f64 v[120:121], v[120:121], v[126:127]
	v_fma_f64 v[126:127], v[34:35], s[34:35], -v[124:125]
	v_mul_f64 v[128:129], v[28:29], s[36:37]
	v_fmac_f64_e32 v[124:125], s[34:35], v[34:35]
	v_add_f64 v[122:123], v[122:123], v[132:133]
	v_fma_f64 v[132:133], s[34:35], v[118:119], v[128:129]
	v_add_f64 v[124:125], v[124:125], v[130:131]
	v_fma_f64 v[128:129], v[118:119], s[34:35], -v[128:129]
	v_mul_f64 v[130:131], v[24:25], s[42:43]
	v_add_f64 v[126:127], v[126:127], v[136:137]
	v_add_f64 v[128:129], v[128:129], v[134:135]
	;; [unrolled: 10-line block ×4, first 2 shown]
	v_fma_f64 v[150:151], v[34:35], s[6:7], -v[146:147]
	v_mul_f64 v[152:153], v[28:29], s[28:29]
	v_mul_f64 v[28:29], v[28:29], s[26:27]
	v_add_f64 v[150:151], v[150:151], v[158:159]
	v_fmac_f64_e32 v[146:147], s[6:7], v[34:35]
	v_mul_f64 v[24:25], v[24:25], s[26:27]
	v_fma_f64 v[158:159], s[24:25], v[118:119], v[28:29]
	v_fma_f64 v[28:29], v[118:119], s[24:25], -v[28:29]
	v_add_f64 v[146:147], v[146:147], v[154:155]
	v_fma_f64 v[154:155], v[34:35], s[24:25], -v[24:25]
	v_fmac_f64_e32 v[24:25], s[24:25], v[34:35]
	v_add_f64 v[28:29], v[28:29], v[32:33]
	v_add_f64 v[32:33], v[16:17], v[18:19]
	v_add_f64 v[16:17], v[16:17], -v[18:19]
	v_add_f64 v[24:25], v[24:25], v[30:31]
	v_add_f64 v[30:31], v[20:21], v[22:23]
	v_add_f64 v[20:21], v[20:21], -v[22:23]
	v_mul_f64 v[18:19], v[16:17], s[22:23]
	v_fma_f64 v[22:23], v[30:31], s[20:21], -v[18:19]
	v_mul_f64 v[34:35], v[20:21], s[22:23]
	v_fmac_f64_e32 v[18:19], s[20:21], v[30:31]
	v_add_f64 v[22:23], v[22:23], v[116:117]
	v_fma_f64 v[116:117], s[20:21], v[32:33], v[34:35]
	v_add_f64 v[18:19], v[18:19], v[26:27]
	v_fma_f64 v[26:27], v[32:33], s[20:21], -v[34:35]
	v_mul_f64 v[34:35], v[16:17], s[40:41]
	v_add_f64 v[148:149], v[148:149], v[156:157]
	v_fma_f64 v[156:157], s[6:7], v[118:119], v[152:153]
	v_fma_f64 v[152:153], v[118:119], s[6:7], -v[152:153]
	v_add_f64 v[26:27], v[26:27], v[120:121]
	v_fma_f64 v[118:119], v[30:31], s[24:25], -v[34:35]
	v_mul_f64 v[120:121], v[20:21], s[40:41]
	v_fmac_f64_e32 v[34:35], s[24:25], v[30:31]
	v_add_f64 v[116:117], v[116:117], v[122:123]
	v_fma_f64 v[122:123], s[24:25], v[32:33], v[120:121]
	v_add_f64 v[34:35], v[34:35], v[124:125]
	v_fma_f64 v[120:121], v[32:33], s[24:25], -v[120:121]
	v_mul_f64 v[124:125], v[16:17], s[18:19]
	v_add_f64 v[118:119], v[118:119], v[126:127]
	v_add_f64 v[120:121], v[120:121], v[128:129]
	v_fma_f64 v[126:127], v[30:31], s[16:17], -v[124:125]
	v_mul_f64 v[128:129], v[20:21], s[18:19]
	v_fmac_f64_e32 v[124:125], s[16:17], v[30:31]
	v_add_f64 v[122:123], v[122:123], v[132:133]
	v_fma_f64 v[132:133], s[16:17], v[32:33], v[128:129]
	v_add_f64 v[124:125], v[124:125], v[130:131]
	v_fma_f64 v[128:129], v[32:33], s[16:17], -v[128:129]
	v_mul_f64 v[130:131], v[16:17], s[38:39]
	v_add_f64 v[126:127], v[126:127], v[134:135]
	v_add_f64 v[128:129], v[128:129], v[136:137]
	v_fma_f64 v[134:135], v[30:31], s[0:1], -v[130:131]
	v_mul_f64 v[136:137], v[20:21], s[38:39]
	v_fmac_f64_e32 v[130:131], s[0:1], v[30:31]
	s_mov_b32 s41, 0x3fcea1e5
	s_mov_b32 s40, s36
	v_add_f64 v[132:133], v[132:133], v[140:141]
	v_fma_f64 v[140:141], s[0:1], v[32:33], v[136:137]
	v_add_f64 v[130:131], v[130:131], v[138:139]
	v_fma_f64 v[136:137], v[32:33], s[0:1], -v[136:137]
	v_mul_f64 v[138:139], v[16:17], s[40:41]
	s_mov_b32 s39, 0x3fea55e2
	s_mov_b32 s38, s28
	v_add_f64 v[134:135], v[134:135], v[142:143]
	v_add_f64 v[136:137], v[136:137], v[144:145]
	v_fma_f64 v[142:143], v[30:31], s[34:35], -v[138:139]
	v_mul_f64 v[144:145], v[20:21], s[40:41]
	v_mul_f64 v[20:21], v[20:21], s[38:39]
	v_add_f64 v[142:143], v[142:143], v[150:151]
	v_fmac_f64_e32 v[138:139], s[34:35], v[30:31]
	v_mul_f64 v[16:17], v[16:17], s[38:39]
	v_fma_f64 v[150:151], s[6:7], v[32:33], v[20:21]
	v_fma_f64 v[20:21], v[32:33], s[6:7], -v[20:21]
	v_add_f64 v[138:139], v[138:139], v[146:147]
	v_fma_f64 v[146:147], v[30:31], s[6:7], -v[16:17]
	v_fmac_f64_e32 v[16:17], s[6:7], v[30:31]
	v_add_f64 v[20:21], v[20:21], v[28:29]
	v_add_f64 v[28:29], v[8:9], v[10:11]
	v_add_f64 v[8:9], v[8:9], -v[10:11]
	v_add_f64 v[16:17], v[16:17], v[24:25]
	v_add_f64 v[24:25], v[12:13], v[14:15]
	v_mul_f64 v[10:11], v[8:9], s[26:27]
	v_add_f64 v[12:13], v[12:13], -v[14:15]
	v_fma_f64 v[14:15], v[24:25], s[24:25], -v[10:11]
	v_add_f64 v[14:15], v[14:15], v[22:23]
	v_mul_f64 v[22:23], v[12:13], s[26:27]
	v_fmac_f64_e32 v[10:11], s[24:25], v[24:25]
	v_fma_f64 v[30:31], s[24:25], v[28:29], v[22:23]
	v_add_f64 v[10:11], v[10:11], v[18:19]
	v_fma_f64 v[18:19], v[28:29], s[24:25], -v[22:23]
	v_mul_f64 v[22:23], v[8:9], s[30:31]
	v_add_f64 v[140:141], v[140:141], v[148:149]
	v_fma_f64 v[148:149], s[34:35], v[32:33], v[144:145]
	v_fma_f64 v[144:145], v[32:33], s[34:35], -v[144:145]
	v_add_f64 v[18:19], v[18:19], v[26:27]
	v_fma_f64 v[26:27], v[24:25], s[0:1], -v[22:23]
	v_mul_f64 v[32:33], v[12:13], s[30:31]
	v_fmac_f64_e32 v[22:23], s[0:1], v[24:25]
	v_add_f64 v[30:31], v[30:31], v[116:117]
	v_fma_f64 v[116:117], s[0:1], v[28:29], v[32:33]
	v_add_f64 v[22:23], v[22:23], v[34:35]
	v_mul_f64 v[34:35], v[8:9], s[28:29]
	v_add_f64 v[122:123], v[116:117], v[122:123]
	v_fma_f64 v[116:117], v[24:25], s[6:7], -v[34:35]
	v_add_f64 v[126:127], v[116:117], v[126:127]
	v_mul_f64 v[116:117], v[12:13], s[28:29]
	v_add_f64 v[26:27], v[26:27], v[118:119]
	v_fma_f64 v[118:119], s[6:7], v[28:29], v[116:117]
	v_fma_f64 v[116:117], v[28:29], s[6:7], -v[116:117]
	v_add_f64 v[128:129], v[116:117], v[128:129]
	v_mul_f64 v[116:117], v[8:9], s[40:41]
	v_add_f64 v[162:163], v[162:163], v[172:173]
	v_add_f64 v[132:133], v[118:119], v[132:133]
	v_fma_f64 v[118:119], v[24:25], s[34:35], -v[116:117]
	v_add_f64 v[164:165], v[164:165], v[168:169]
	v_add_f64 v[154:155], v[154:155], v[162:163]
	;; [unrolled: 1-line block ×3, first 2 shown]
	v_mul_f64 v[118:119], v[12:13], s[40:41]
	v_fmac_f64_e32 v[116:117], s[34:35], v[24:25]
	v_add_f64 v[156:157], v[156:157], v[164:165]
	v_add_f64 v[146:147], v[146:147], v[154:155]
	;; [unrolled: 1-line block ×3, first 2 shown]
	v_fma_f64 v[116:117], v[28:29], s[34:35], -v[118:119]
	v_add_f64 v[166:167], v[166:167], v[174:175]
	v_add_f64 v[148:149], v[148:149], v[156:157]
	v_fma_f64 v[32:33], v[28:29], s[0:1], -v[32:33]
	v_add_f64 v[156:157], v[116:117], v[136:137]
	v_mul_f64 v[116:117], v[8:9], s[18:19]
	v_add_f64 v[158:159], v[158:159], v[166:167]
	v_add_f64 v[32:33], v[32:33], v[120:121]
	v_fma_f64 v[120:121], s[34:35], v[28:29], v[118:119]
	v_fma_f64 v[118:119], v[24:25], s[16:17], -v[116:117]
	v_add_f64 v[152:153], v[152:153], v[160:161]
	v_add_f64 v[150:151], v[150:151], v[158:159]
	;; [unrolled: 1-line block ×3, first 2 shown]
	v_mul_f64 v[118:119], v[12:13], s[18:19]
	v_fmac_f64_e32 v[116:117], s[16:17], v[24:25]
	v_add_f64 v[144:145], v[144:145], v[152:153]
	v_add_f64 v[160:161], v[116:117], v[138:139]
	v_fma_f64 v[116:117], v[28:29], s[16:17], -v[118:119]
	v_mul_f64 v[8:9], v[8:9], s[22:23]
	v_add_f64 v[162:163], v[116:117], v[144:145]
	v_fma_f64 v[116:117], v[24:25], s[20:21], -v[8:9]
	v_mul_f64 v[12:13], v[12:13], s[22:23]
	v_add_f64 v[164:165], v[116:117], v[146:147]
	v_fma_f64 v[116:117], s[20:21], v[28:29], v[12:13]
	v_fma_f64 v[12:13], v[28:29], s[20:21], -v[12:13]
	v_fmac_f64_e32 v[8:9], s[20:21], v[24:25]
	v_add_f64 v[12:13], v[12:13], v[20:21]
	v_add_f64 v[20:21], v[0:1], v[2:3]
	v_add_f64 v[0:1], v[0:1], -v[2:3]
	v_add_f64 v[8:9], v[8:9], v[16:17]
	v_add_f64 v[16:17], v[4:5], v[6:7]
	v_mul_f64 v[2:3], v[0:1], s[36:37]
	v_add_f64 v[4:5], v[4:5], -v[6:7]
	v_fma_f64 v[6:7], v[16:17], s[34:35], -v[2:3]
	v_add_f64 v[150:151], v[116:117], v[150:151]
	v_add_f64 v[116:117], v[6:7], v[14:15]
	v_mul_f64 v[6:7], v[4:5], s[36:37]
	v_fmac_f64_e32 v[2:3], s[34:35], v[16:17]
	v_add_f64 v[136:137], v[2:3], v[10:11]
	v_fma_f64 v[2:3], v[20:21], s[34:35], -v[6:7]
	v_add_f64 v[138:139], v[2:3], v[18:19]
	v_mul_f64 v[2:3], v[0:1], s[18:19]
	v_add_f64 v[152:153], v[120:121], v[140:141]
	v_fma_f64 v[120:121], s[16:17], v[28:29], v[118:119]
	v_fma_f64 v[14:15], s[34:35], v[20:21], v[6:7]
	v_fma_f64 v[6:7], v[16:17], s[16:17], -v[2:3]
	v_add_f64 v[148:149], v[120:121], v[148:149]
	v_add_f64 v[120:121], v[6:7], v[26:27]
	v_mul_f64 v[6:7], v[4:5], s[18:19]
	v_fmac_f64_e32 v[2:3], s[16:17], v[16:17]
	v_add_f64 v[140:141], v[2:3], v[22:23]
	v_fma_f64 v[2:3], v[20:21], s[16:17], -v[6:7]
	v_add_f64 v[142:143], v[2:3], v[32:33]
	v_mul_f64 v[2:3], v[0:1], s[26:27]
	v_fmac_f64_e32 v[34:35], s[6:7], v[24:25]
	v_fma_f64 v[10:11], s[16:17], v[20:21], v[6:7]
	v_fma_f64 v[6:7], v[16:17], s[24:25], -v[2:3]
	v_add_f64 v[34:35], v[34:35], v[124:125]
	v_add_f64 v[124:125], v[6:7], v[126:127]
	v_mul_f64 v[6:7], v[4:5], s[26:27]
	v_fmac_f64_e32 v[2:3], s[24:25], v[16:17]
	v_add_f64 v[144:145], v[2:3], v[34:35]
	v_fma_f64 v[2:3], v[20:21], s[24:25], -v[6:7]
	v_add_f64 v[146:147], v[2:3], v[128:129]
	v_mul_f64 v[2:3], v[0:1], s[38:39]
	v_add_f64 v[122:123], v[10:11], v[122:123]
	v_fma_f64 v[10:11], s[24:25], v[20:21], v[6:7]
	v_fma_f64 v[6:7], v[16:17], s[6:7], -v[2:3]
	v_add_f64 v[128:129], v[6:7], v[134:135]
	v_mul_f64 v[6:7], v[4:5], s[38:39]
	v_add_f64 v[126:127], v[10:11], v[132:133]
	v_fma_f64 v[10:11], s[6:7], v[20:21], v[6:7]
	v_fmac_f64_e32 v[2:3], s[6:7], v[16:17]
	v_add_f64 v[130:131], v[10:11], v[152:153]
	v_add_f64 v[152:153], v[2:3], v[154:155]
	v_fma_f64 v[2:3], v[20:21], s[6:7], -v[6:7]
	v_add_f64 v[154:155], v[2:3], v[156:157]
	v_mul_f64 v[2:3], v[0:1], s[22:23]
	v_fma_f64 v[6:7], v[16:17], s[20:21], -v[2:3]
	v_add_f64 v[132:133], v[6:7], v[158:159]
	v_mul_f64 v[6:7], v[4:5], s[22:23]
	v_fmac_f64_e32 v[2:3], s[20:21], v[16:17]
	v_add_f64 v[156:157], v[2:3], v[160:161]
	v_fma_f64 v[2:3], v[20:21], s[20:21], -v[6:7]
	v_mul_f64 v[0:1], v[0:1], s[30:31]
	v_fma_f64 v[10:11], s[20:21], v[20:21], v[6:7]
	v_add_f64 v[158:159], v[2:3], v[162:163]
	v_fma_f64 v[2:3], v[16:17], s[0:1], -v[0:1]
	v_add_f64 v[134:135], v[10:11], v[148:149]
	v_add_f64 v[148:149], v[2:3], v[164:165]
	v_mul_f64 v[2:3], v[4:5], s[30:31]
	v_fmac_f64_e32 v[0:1], s[0:1], v[16:17]
	v_accvgpr_write_b32 a63, v43
	v_accvgpr_write_b32 a59, v39
	v_fma_f64 v[4:5], s[0:1], v[20:21], v[2:3]
	v_add_f64 v[160:161], v[0:1], v[8:9]
	v_fma_f64 v[0:1], v[20:21], s[0:1], -v[2:3]
	v_accvgpr_write_b32 a62, v42
	v_accvgpr_write_b32 a61, v41
	;; [unrolled: 1-line block ×6, first 2 shown]
	v_add_f64 v[118:119], v[14:15], v[30:31]
	v_add_f64 v[150:151], v[4:5], v[150:151]
	;; [unrolled: 1-line block ×3, first 2 shown]
	ds_write_b128 v216, v[112:115]
	ds_write_b128 v216, v[116:119] offset:1904
	ds_write_b128 v216, v[120:123] offset:3808
	ds_write_b128 v216, v[124:127] offset:5712
	ds_write_b128 v216, v[128:131] offset:7616
	ds_write_b128 v216, v[132:135] offset:9520
	ds_write_b128 v216, v[148:151] offset:11424
	ds_write_b128 v216, v[160:163] offset:13328
	ds_write_b128 v216, v[156:159] offset:15232
	ds_write_b128 v216, v[152:155] offset:17136
	ds_write_b128 v216, v[144:147] offset:19040
	ds_write_b128 v216, v[140:143] offset:20944
	ds_write_b128 v216, v[136:139] offset:22848
	s_waitcnt lgkmcnt(0)
	s_barrier
	s_and_saveexec_b64 s[0:1], s[4:5]
	s_cbranch_execz .LBB0_13
; %bb.12:
	v_mov_b32_e32 v2, v217
	v_mov_b32_e32 v217, 0
	v_lshl_add_u64 v[0:1], s[12:13], 0, v[216:217]
	v_add_co_u32_e32 v6, vcc, 0x6000, v0
	v_mov_b32_e32 v217, v2
	s_nop 0
	v_addc_co_u32_e32 v7, vcc, 0, v1, vcc
	global_load_dwordx4 v[6:9], v[6:7], off offset:176
	ds_read_b128 v[2:5], v216
	ds_read_b128 v[164:167], v216 offset:23296
	s_mov_b64 s[6:7], 0x60b0
	v_lshl_add_u64 v[14:15], v[0:1], 0, s[6:7]
	s_movk_i32 s6, 0x7000
	s_waitcnt vmcnt(0) lgkmcnt(1)
	v_mul_f64 v[10:11], v[4:5], v[8:9]
	v_mul_f64 v[12:13], v[2:3], v[8:9]
	v_fma_f64 v[10:11], v[2:3], v[6:7], -v[10:11]
	v_fmac_f64_e32 v[12:13], v[4:5], v[6:7]
	global_load_dwordx4 v[6:9], v[14:15], off offset:1456
	ds_read_b128 v[2:5], v216 offset:1456
	ds_write_b128 v216, v[10:13]
	s_waitcnt vmcnt(0) lgkmcnt(1)
	v_mul_f64 v[10:11], v[4:5], v[8:9]
	v_mul_f64 v[12:13], v[2:3], v[8:9]
	v_fma_f64 v[10:11], v[2:3], v[6:7], -v[10:11]
	v_fmac_f64_e32 v[12:13], v[4:5], v[6:7]
	global_load_dwordx4 v[6:9], v[14:15], off offset:2912
	ds_read_b128 v[2:5], v216 offset:2912
	v_add_co_u32_e32 v14, vcc, s6, v0
	ds_write_b128 v216, v[10:13] offset:1456
	s_nop 0
	v_addc_co_u32_e32 v15, vcc, 0, v1, vcc
	s_mov_b32 s6, 0x8000
	s_waitcnt vmcnt(0) lgkmcnt(1)
	v_mul_f64 v[10:11], v[4:5], v[8:9]
	v_mul_f64 v[12:13], v[2:3], v[8:9]
	v_fma_f64 v[10:11], v[2:3], v[6:7], -v[10:11]
	v_fmac_f64_e32 v[12:13], v[4:5], v[6:7]
	global_load_dwordx4 v[6:9], v[14:15], off offset:448
	ds_read_b128 v[2:5], v216 offset:4368
	ds_write_b128 v216, v[10:13] offset:2912
	s_waitcnt vmcnt(0) lgkmcnt(1)
	v_mul_f64 v[10:11], v[4:5], v[8:9]
	v_mul_f64 v[12:13], v[2:3], v[8:9]
	v_fma_f64 v[10:11], v[2:3], v[6:7], -v[10:11]
	v_fmac_f64_e32 v[12:13], v[4:5], v[6:7]
	global_load_dwordx4 v[6:9], v[14:15], off offset:1904
	ds_read_b128 v[2:5], v216 offset:5824
	ds_write_b128 v216, v[10:13] offset:4368
	s_waitcnt vmcnt(0) lgkmcnt(1)
	v_mul_f64 v[10:11], v[4:5], v[8:9]
	v_mul_f64 v[12:13], v[2:3], v[8:9]
	v_fma_f64 v[10:11], v[2:3], v[6:7], -v[10:11]
	v_fmac_f64_e32 v[12:13], v[4:5], v[6:7]
	global_load_dwordx4 v[6:9], v[14:15], off offset:3360
	ds_read_b128 v[2:5], v216 offset:7280
	v_add_co_u32_e32 v14, vcc, s6, v0
	ds_write_b128 v216, v[10:13] offset:5824
	s_nop 0
	v_addc_co_u32_e32 v15, vcc, 0, v1, vcc
	s_mov_b32 s6, 0x9000
	s_waitcnt vmcnt(0) lgkmcnt(1)
	v_mul_f64 v[10:11], v[4:5], v[8:9]
	v_mul_f64 v[12:13], v[2:3], v[8:9]
	v_fma_f64 v[10:11], v[2:3], v[6:7], -v[10:11]
	v_fmac_f64_e32 v[12:13], v[4:5], v[6:7]
	global_load_dwordx4 v[6:9], v[14:15], off offset:720
	ds_read_b128 v[2:5], v216 offset:8736
	ds_write_b128 v216, v[10:13] offset:7280
	s_waitcnt vmcnt(0) lgkmcnt(1)
	v_mul_f64 v[10:11], v[4:5], v[8:9]
	v_mul_f64 v[12:13], v[2:3], v[8:9]
	v_fma_f64 v[10:11], v[2:3], v[6:7], -v[10:11]
	v_fmac_f64_e32 v[12:13], v[4:5], v[6:7]
	global_load_dwordx4 v[6:9], v[14:15], off offset:2176
	ds_read_b128 v[2:5], v216 offset:10192
	ds_write_b128 v216, v[10:13] offset:8736
	;; [unrolled: 28-line block ×4, first 2 shown]
	s_waitcnt vmcnt(0) lgkmcnt(1)
	v_mul_f64 v[10:11], v[4:5], v[8:9]
	v_mul_f64 v[12:13], v[2:3], v[8:9]
	v_fma_f64 v[10:11], v[2:3], v[6:7], -v[10:11]
	v_fmac_f64_e32 v[12:13], v[4:5], v[6:7]
	ds_write_b128 v216, v[10:13] offset:18928
	v_add_co_u32_e32 v12, vcc, s6, v0
	ds_read_b128 v[2:5], v216 offset:20384
	s_nop 0
	v_addc_co_u32_e32 v13, vcc, 0, v1, vcc
	global_load_dwordx4 v[6:9], v[12:13], off offset:80
	global_load_dwordx4 v[168:171], v[12:13], off offset:2992
	s_waitcnt vmcnt(1) lgkmcnt(0)
	v_mul_f64 v[0:1], v[4:5], v[8:9]
	v_fma_f64 v[0:1], v[2:3], v[6:7], -v[0:1]
	v_mul_f64 v[2:3], v[2:3], v[8:9]
	v_fmac_f64_e32 v[2:3], v[4:5], v[6:7]
	global_load_dwordx4 v[4:7], v[12:13], off offset:1536
	ds_write_b128 v216, v[0:3] offset:20384
	ds_read_b128 v[0:3], v216 offset:21840
	s_waitcnt vmcnt(0) lgkmcnt(0)
	v_mul_f64 v[8:9], v[2:3], v[6:7]
	v_mul_f64 v[10:11], v[0:1], v[6:7]
	v_fma_f64 v[8:9], v[0:1], v[4:5], -v[8:9]
	v_fmac_f64_e32 v[10:11], v[2:3], v[4:5]
	v_mul_f64 v[0:1], v[166:167], v[170:171]
	v_mul_f64 v[2:3], v[164:165], v[170:171]
	v_fma_f64 v[0:1], v[164:165], v[168:169], -v[0:1]
	v_fmac_f64_e32 v[2:3], v[166:167], v[168:169]
	ds_write_b128 v216, v[8:11] offset:21840
	ds_write_b128 v216, v[0:3] offset:23296
.LBB0_13:
	s_or_b64 exec, exec, s[0:1]
	s_waitcnt lgkmcnt(0)
	s_barrier
	s_and_saveexec_b64 s[0:1], s[4:5]
	s_cbranch_execz .LBB0_15
; %bb.14:
	ds_read_b128 v[112:115], v216
	ds_read_b128 v[116:119], v216 offset:1456
	ds_read_b128 v[120:123], v216 offset:2912
	;; [unrolled: 1-line block ×16, first 2 shown]
.LBB0_15:
	s_or_b64 exec, exec, s[0:1]
	s_mov_b32 s18, 0xeb564b22
	s_waitcnt lgkmcnt(0)
	v_add_f64 v[224:225], v[118:119], -v[192:193]
	s_mov_b32 s0, 0x3259b75e
	s_mov_b32 s19, 0xbfefdd0d
	;; [unrolled: 1-line block ×3, first 2 shown]
	v_add_f64 v[220:221], v[116:117], v[190:191]
	v_add_f64 v[222:223], v[118:119], v[192:193]
	s_mov_b32 s1, 0x3fb79ee6
	v_mul_f64 v[38:39], v[224:225], s[18:19]
	s_mov_b32 s31, 0xbfc7851a
	s_mov_b32 s28, 0x7faef3
	v_add_f64 v[230:231], v[122:123], -v[204:205]
	v_add_f64 v[226:227], v[116:117], -v[190:191]
	v_mul_f64 v[36:37], v[222:223], s[0:1]
	v_fma_f64 v[0:1], v[220:221], s[0:1], -v[38:39]
	s_mov_b32 s29, 0xbfef7484
	v_add_f64 v[218:219], v[120:121], v[202:203]
	v_add_f64 v[228:229], v[122:123], v[204:205]
	v_mul_f64 v[42:43], v[230:231], s[30:31]
	v_add_f64 v[0:1], v[112:113], v[0:1]
	v_fma_f64 v[2:3], s[18:19], v[226:227], v[36:37]
	s_mov_b32 s22, 0x923c349f
	s_mov_b32 s26, 0x4363dd80
	v_add_f64 v[232:233], v[120:121], -v[202:203]
	v_mul_f64 v[44:45], v[228:229], s[28:29]
	v_fma_f64 v[28:29], v[218:219], s[28:29], -v[42:43]
	v_add_f64 v[2:3], v[114:115], v[2:3]
	s_mov_b32 s6, 0xc61f0d01
	s_mov_b32 s23, 0xbfeec746
	;; [unrolled: 1-line block ×5, first 2 shown]
	v_add_f64 v[0:1], v[28:29], v[0:1]
	v_fma_f64 v[28:29], s[30:31], v[232:233], v[44:45]
	s_mov_b32 s7, 0xbfd183b1
	v_mul_f64 v[40:41], v[224:225], s[22:23]
	s_mov_b32 s20, 0x910ea3b9
	v_add_f64 v[2:3], v[28:29], v[2:3]
	v_mul_f64 v[28:29], v[230:231], s[36:37]
	v_mul_f64 v[60:61], v[222:223], s[6:7]
	v_fma_f64 v[4:5], v[220:221], s[6:7], -v[40:41]
	s_mov_b32 s21, 0xbfeb34fa
	v_accvgpr_write_b32 a69, v29
	v_add_f64 v[4:5], v[112:113], v[4:5]
	v_fma_f64 v[6:7], s[22:23], v[226:227], v[60:61]
	s_mov_b32 s16, 0x6ed5f1bb
	s_mov_b32 s24, 0x6c9a05f6
	v_mul_f64 v[30:31], v[228:229], s[20:21]
	v_accvgpr_write_b32 a68, v28
	v_fma_f64 v[28:29], v[218:219], s[20:21], -v[28:29]
	v_add_f64 v[6:7], v[114:115], v[6:7]
	s_mov_b32 s17, 0xbfe348c8
	s_mov_b32 s25, 0xbfe9895b
	v_add_f64 v[4:5], v[28:29], v[4:5]
	v_fma_f64 v[28:29], s[36:37], v[232:233], v[30:31]
	s_mov_b32 s47, 0x3feec746
	s_mov_b32 s46, s22
	v_mul_f64 v[66:67], v[224:225], s[24:25]
	v_mul_f64 v[10:11], v[222:223], s[16:17]
	v_add_f64 v[6:7], v[28:29], v[6:7]
	v_mul_f64 v[28:29], v[230:231], s[46:47]
	v_fma_f64 v[8:9], v[220:221], s[16:17], -v[66:67]
	v_accvgpr_write_b32 a4, v10
	v_accvgpr_write_b32 a8, v30
	;; [unrolled: 1-line block ×3, first 2 shown]
	v_add_f64 v[8:9], v[112:113], v[8:9]
	v_accvgpr_write_b32 a5, v11
	v_fma_f64 v[10:11], s[24:25], v[226:227], v[10:11]
	v_accvgpr_write_b32 a9, v31
	v_mul_f64 v[30:31], v[228:229], s[6:7]
	v_accvgpr_write_b32 a7, v29
	v_fma_f64 v[28:29], v[218:219], s[6:7], -v[28:29]
	s_mov_b32 s48, 0x7c9e640b
	v_add_f64 v[10:11], v[114:115], v[10:11]
	v_mul_f64 v[12:13], v[224:225], s[26:27]
	v_add_f64 v[8:9], v[28:29], v[8:9]
	v_fma_f64 v[28:29], s[46:47], v[232:233], v[30:31]
	s_mov_b32 s49, 0x3feca52d
	s_mov_b32 s34, 0x2b2883cd
	v_fma_f64 v[14:15], s[20:21], v[220:221], v[12:13]
	v_accvgpr_write_b32 a10, v30
	v_add_f64 v[10:11], v[28:29], v[10:11]
	v_mul_f64 v[28:29], v[230:231], s[48:49]
	s_mov_b32 s35, 0x3fdc86fa
	v_add_f64 v[14:15], v[112:113], v[14:15]
	v_mul_f64 v[16:17], v[222:223], s[20:21]
	v_fma_f64 v[12:13], v[220:221], s[20:21], -v[12:13]
	v_accvgpr_write_b32 a11, v31
	v_fma_f64 v[30:31], s[34:35], v[218:219], v[28:29]
	s_mov_b32 s52, 0x5d8e7cdc
	v_fma_f64 v[18:19], s[36:37], v[226:227], v[16:17]
	v_add_f64 v[12:13], v[112:113], v[12:13]
	v_fmac_f64_e32 v[16:17], s[26:27], v[226:227]
	v_mul_f64 v[20:21], v[224:225], s[30:31]
	v_add_f64 v[14:15], v[30:31], v[14:15]
	v_mul_f64 v[30:31], v[228:229], s[34:35]
	s_mov_b32 s41, 0xbfeca52d
	s_mov_b32 s40, s48
	v_fma_f64 v[28:29], v[218:219], s[34:35], -v[28:29]
	s_mov_b32 s53, 0x3fd71e95
	s_mov_b32 s38, 0x370991
	v_add_f64 v[16:17], v[114:115], v[16:17]
	v_fma_f64 v[22:23], s[28:29], v[220:221], v[20:21]
	v_fma_f64 v[20:21], v[220:221], s[28:29], -v[20:21]
	v_fma_f64 v[32:33], s[40:41], v[232:233], v[30:31]
	v_add_f64 v[12:13], v[28:29], v[12:13]
	v_fmac_f64_e32 v[30:31], s[48:49], v[232:233]
	v_mul_f64 v[28:29], v[230:231], s[52:53]
	s_mov_b32 s39, 0x3fedd6d0
	v_add_f64 v[22:23], v[112:113], v[22:23]
	v_mul_f64 v[24:25], v[222:223], s[28:29]
	s_mov_b32 s51, 0x3fc7851a
	s_mov_b32 s50, s30
	v_add_f64 v[20:21], v[112:113], v[20:21]
	v_add_f64 v[16:17], v[30:31], v[16:17]
	v_fma_f64 v[30:31], s[38:39], v[218:219], v[28:29]
	v_fma_f64 v[28:29], v[218:219], s[38:39], -v[28:29]
	v_add_f64 v[238:239], v[126:127], -v[208:209]
	v_add_f64 v[18:19], v[114:115], v[18:19]
	v_fma_f64 v[26:27], s[50:51], v[226:227], v[24:25]
	v_fmac_f64_e32 v[24:25], s[30:31], v[226:227]
	v_add_f64 v[22:23], v[30:31], v[22:23]
	v_mul_f64 v[30:31], v[228:229], s[38:39]
	s_mov_b32 s45, 0xbfd71e95
	s_mov_b32 s44, s52
	v_add_f64 v[20:21], v[28:29], v[20:21]
	v_mul_f64 v[28:29], v[238:239], s[46:47]
	v_add_f64 v[24:25], v[114:115], v[24:25]
	v_add_f64 v[18:19], v[32:33], v[18:19]
	v_fma_f64 v[32:33], s[44:45], v[232:233], v[30:31]
	v_fmac_f64_e32 v[30:31], s[52:53], v[232:233]
	v_add_f64 v[234:235], v[124:125], v[206:207]
	v_add_f64 v[236:237], v[126:127], v[208:209]
	v_accvgpr_write_b32 a71, v29
	v_add_f64 v[24:25], v[30:31], v[24:25]
	v_add_f64 v[240:241], v[124:125], -v[206:207]
	v_mul_f64 v[30:31], v[236:237], s[6:7]
	v_accvgpr_write_b32 a70, v28
	v_fma_f64 v[28:29], v[234:235], s[6:7], -v[28:29]
	s_mov_b32 s56, 0x2a9d6da3
	v_add_f64 v[0:1], v[28:29], v[0:1]
	v_fma_f64 v[28:29], s[46:47], v[240:241], v[30:31]
	s_mov_b32 s57, 0x3fe58eea
	v_add_f64 v[2:3], v[28:29], v[2:3]
	s_mov_b32 s42, 0x75d4884
	v_mul_f64 v[28:29], v[238:239], s[56:57]
	v_accvgpr_write_b32 a73, v31
	s_mov_b32 s43, 0x3fe7a5f6
	v_accvgpr_write_b32 a75, v29
	v_accvgpr_write_b32 a72, v30
	v_mul_f64 v[30:31], v[236:237], s[42:43]
	v_accvgpr_write_b32 a74, v28
	v_fma_f64 v[28:29], v[234:235], s[42:43], -v[28:29]
	v_add_f64 v[4:5], v[28:29], v[4:5]
	v_fma_f64 v[28:29], s[56:57], v[240:241], v[30:31]
	v_add_f64 v[6:7], v[28:29], v[6:7]
	v_mul_f64 v[28:29], v[238:239], s[44:45]
	v_accvgpr_write_b32 a12, v30
	v_accvgpr_write_b32 a14, v28
	;; [unrolled: 1-line block ×3, first 2 shown]
	v_mul_f64 v[30:31], v[236:237], s[38:39]
	v_accvgpr_write_b32 a15, v29
	v_fma_f64 v[28:29], v[234:235], s[38:39], -v[28:29]
	v_add_f64 v[8:9], v[28:29], v[8:9]
	v_fma_f64 v[28:29], s[44:45], v[240:241], v[30:31]
	v_accvgpr_write_b32 a53, v31
	v_add_f64 v[10:11], v[28:29], v[10:11]
	v_mul_f64 v[28:29], v[238:239], s[18:19]
	v_accvgpr_write_b32 a52, v30
	v_fma_f64 v[30:31], s[0:1], v[234:235], v[28:29]
	v_add_f64 v[26:27], v[114:115], v[26:27]
	v_add_f64 v[14:15], v[30:31], v[14:15]
	v_mul_f64 v[30:31], v[236:237], s[0:1]
	s_mov_b32 s59, 0x3fefdd0d
	s_mov_b32 s58, s18
	v_fma_f64 v[28:29], v[234:235], s[0:1], -v[28:29]
	v_add_f64 v[26:27], v[32:33], v[26:27]
	v_fma_f64 v[32:33], s[58:59], v[240:241], v[30:31]
	v_add_f64 v[12:13], v[28:29], v[12:13]
	v_fmac_f64_e32 v[30:31], s[18:19], v[240:241]
	v_mul_f64 v[28:29], v[238:239], s[26:27]
	v_add_f64 v[16:17], v[30:31], v[16:17]
	v_fma_f64 v[30:31], s[20:21], v[234:235], v[28:29]
	v_fma_f64 v[28:29], v[234:235], s[20:21], -v[28:29]
	v_add_f64 v[246:247], v[130:131], -v[110:111]
	v_add_f64 v[22:23], v[30:31], v[22:23]
	v_mul_f64 v[30:31], v[236:237], s[20:21]
	v_add_f64 v[20:21], v[28:29], v[20:21]
	v_mul_f64 v[28:29], v[246:247], s[52:53]
	v_add_f64 v[18:19], v[32:33], v[18:19]
	v_fma_f64 v[32:33], s[36:37], v[240:241], v[30:31]
	v_fmac_f64_e32 v[30:31], s[26:27], v[240:241]
	v_add_f64 v[242:243], v[128:129], v[108:109]
	v_add_f64 v[244:245], v[130:131], v[110:111]
	v_accvgpr_write_b32 a85, v29
	v_add_f64 v[24:25], v[30:31], v[24:25]
	v_add_f64 v[248:249], v[128:129], -v[108:109]
	v_mul_f64 v[30:31], v[244:245], s[38:39]
	v_accvgpr_write_b32 a84, v28
	v_fma_f64 v[28:29], v[242:243], s[38:39], -v[28:29]
	v_add_f64 v[0:1], v[28:29], v[0:1]
	v_fma_f64 v[28:29], s[52:53], v[248:249], v[30:31]
	v_add_f64 v[2:3], v[28:29], v[2:3]
	v_mul_f64 v[28:29], v[246:247], s[40:41]
	v_accvgpr_write_b32 a87, v31
	v_accvgpr_write_b32 a89, v29
	;; [unrolled: 1-line block ×3, first 2 shown]
	v_mul_f64 v[30:31], v[244:245], s[34:35]
	v_accvgpr_write_b32 a88, v28
	v_fma_f64 v[28:29], v[242:243], s[34:35], -v[28:29]
	v_add_f64 v[4:5], v[28:29], v[4:5]
	v_fma_f64 v[28:29], s[40:41], v[248:249], v[30:31]
	v_add_f64 v[6:7], v[28:29], v[6:7]
	v_mul_f64 v[28:29], v[246:247], s[26:27]
	v_accvgpr_write_b32 a65, v31
	v_accvgpr_write_b32 a55, v29
	;; [unrolled: 1-line block ×3, first 2 shown]
	v_mul_f64 v[30:31], v[244:245], s[20:21]
	v_accvgpr_write_b32 a54, v28
	v_fma_f64 v[28:29], v[242:243], s[20:21], -v[28:29]
	v_add_f64 v[8:9], v[28:29], v[8:9]
	v_fma_f64 v[28:29], s[26:27], v[248:249], v[30:31]
	s_mov_b32 s61, 0x3fe9895b
	s_mov_b32 s60, s24
	v_accvgpr_write_b32 a67, v31
	v_add_f64 v[10:11], v[28:29], v[10:11]
	v_mul_f64 v[28:29], v[246:247], s[60:61]
	v_accvgpr_write_b32 a66, v30
	v_fma_f64 v[30:31], s[16:17], v[242:243], v[28:29]
	v_add_f64 v[14:15], v[30:31], v[14:15]
	v_mul_f64 v[30:31], v[244:245], s[16:17]
	v_fma_f64 v[28:29], v[242:243], s[16:17], -v[28:29]
	v_add_f64 v[26:27], v[32:33], v[26:27]
	v_fma_f64 v[32:33], s[24:25], v[248:249], v[30:31]
	v_add_f64 v[28:29], v[28:29], v[12:13]
	v_fmac_f64_e32 v[30:31], s[60:61], v[248:249]
	v_mul_f64 v[12:13], v[246:247], s[56:57]
	v_add_f64 v[16:17], v[30:31], v[16:17]
	v_fma_f64 v[30:31], s[42:43], v[242:243], v[12:13]
	v_add_f64 v[22:23], v[30:31], v[22:23]
	v_mul_f64 v[30:31], v[244:245], s[42:43]
	s_mov_b32 s55, 0xbfe58eea
	s_mov_b32 s54, s56
	v_add_f64 v[18:19], v[32:33], v[18:19]
	v_fma_f64 v[32:33], s[54:55], v[248:249], v[30:31]
	v_fmac_f64_e32 v[30:31], s[56:57], v[248:249]
	v_add_f64 v[254:255], v[134:135], -v[138:139]
	v_add_f64 v[24:25], v[30:31], v[24:25]
	v_mul_f64 v[30:31], v[254:255], s[40:41]
	v_fma_f64 v[12:13], v[242:243], s[42:43], -v[12:13]
	v_add_f64 v[250:251], v[132:133], v[136:137]
	v_add_f64 v[252:253], v[134:135], v[138:139]
	v_accvgpr_write_b32 a91, v31
	v_add_f64 v[26:27], v[32:33], v[26:27]
	v_add_f64 v[20:21], v[12:13], v[20:21]
	v_add_f64 v[12:13], v[132:133], -v[136:137]
	v_mul_f64 v[32:33], v[252:253], s[34:35]
	v_accvgpr_write_b32 a90, v30
	v_fma_f64 v[30:31], v[250:251], s[34:35], -v[30:31]
	v_add_f64 v[0:1], v[30:31], v[0:1]
	v_fma_f64 v[30:31], s[40:41], v[12:13], v[32:33]
	v_add_f64 v[2:3], v[30:31], v[2:3]
	v_mul_f64 v[30:31], v[254:255], s[30:31]
	v_accvgpr_write_b32 a93, v33
	v_accvgpr_write_b32 a95, v31
	;; [unrolled: 1-line block ×3, first 2 shown]
	v_mul_f64 v[32:33], v[252:253], s[28:29]
	v_accvgpr_write_b32 a94, v30
	v_fma_f64 v[30:31], v[250:251], s[28:29], -v[30:31]
	v_add_f64 v[4:5], v[30:31], v[4:5]
	v_fma_f64 v[30:31], s[30:31], v[12:13], v[32:33]
	v_add_f64 v[6:7], v[30:31], v[6:7]
	v_mul_f64 v[30:31], v[254:255], s[58:59]
	v_accvgpr_write_b32 a99, v33
	v_accvgpr_write_b32 a103, v31
	;; [unrolled: 1-line block ×3, first 2 shown]
	v_mul_f64 v[32:33], v[252:253], s[0:1]
	v_accvgpr_write_b32 a102, v30
	v_fma_f64 v[30:31], v[250:251], s[0:1], -v[30:31]
	v_add_f64 v[8:9], v[30:31], v[8:9]
	v_fma_f64 v[30:31], s[58:59], v[12:13], v[32:33]
	v_accvgpr_write_b32 a107, v33
	v_add_f64 v[10:11], v[30:31], v[10:11]
	v_mul_f64 v[30:31], v[254:255], s[44:45]
	v_accvgpr_write_b32 a106, v32
	v_fma_f64 v[32:33], s[38:39], v[250:251], v[30:31]
	v_add_f64 v[32:33], v[32:33], v[14:15]
	v_mul_f64 v[14:15], v[252:253], s[38:39]
	v_fma_f64 v[34:35], s[52:53], v[12:13], v[14:15]
	v_fmac_f64_e32 v[14:15], s[44:45], v[12:13]
	v_add_f64 v[34:35], v[34:35], v[18:19]
	v_fma_f64 v[18:19], v[250:251], s[38:39], -v[30:31]
	v_add_f64 v[30:31], v[14:15], v[16:17]
	v_mul_f64 v[14:15], v[254:255], s[24:25]
	v_fma_f64 v[16:17], s[16:17], v[250:251], v[14:15]
	v_add_f64 v[22:23], v[16:17], v[22:23]
	v_mul_f64 v[16:17], v[252:253], s[16:17]
	v_add_f64 v[28:29], v[18:19], v[28:29]
	v_fma_f64 v[18:19], s[60:61], v[12:13], v[16:17]
	v_add_f64 v[26:27], v[18:19], v[26:27]
	v_fma_f64 v[14:15], v[250:251], s[16:17], -v[14:15]
	v_fmac_f64_e32 v[16:17], s[24:25], v[12:13]
	v_add_f64 v[18:19], v[150:151], -v[142:143]
	v_add_f64 v[164:165], v[14:15], v[20:21]
	v_add_f64 v[24:25], v[16:17], v[24:25]
	;; [unrolled: 1-line block ×4, first 2 shown]
	v_mul_f64 v[72:73], v[18:19], s[26:27]
	v_add_f64 v[20:21], v[148:149], -v[140:141]
	v_mul_f64 v[74:75], v[16:17], s[20:21]
	v_accvgpr_write_b32 a97, v73
	v_fma_f64 v[166:167], v[14:15], s[20:21], -v[72:73]
	v_accvgpr_write_b32 a96, v72
	v_add_f64 v[0:1], v[166:167], v[0:1]
	v_accvgpr_write_b32 a101, v75
	v_fma_f64 v[166:167], s[26:27], v[20:21], v[74:75]
	v_mul_f64 v[72:73], v[18:19], s[58:59]
	v_accvgpr_write_b32 a100, v74
	v_add_f64 v[2:3], v[166:167], v[2:3]
	v_mul_f64 v[74:75], v[16:17], s[0:1]
	v_fma_f64 v[166:167], v[14:15], s[0:1], -v[72:73]
	v_add_f64 v[4:5], v[166:167], v[4:5]
	v_fma_f64 v[166:167], s[58:59], v[20:21], v[74:75]
	v_mul_f64 v[194:195], v[18:19], s[54:55]
	v_add_f64 v[6:7], v[166:167], v[6:7]
	v_mul_f64 v[214:215], v[16:17], s[42:43]
	v_fma_f64 v[166:167], v[14:15], s[42:43], -v[194:195]
	v_add_f64 v[8:9], v[166:167], v[8:9]
	v_fma_f64 v[166:167], s[54:55], v[20:21], v[214:215]
	v_add_f64 v[10:11], v[166:167], v[10:11]
	v_mul_f64 v[166:167], v[18:19], s[30:31]
	v_fma_f64 v[168:169], s[28:29], v[14:15], v[166:167]
	v_add_f64 v[32:33], v[168:169], v[32:33]
	v_mul_f64 v[168:169], v[16:17], s[28:29]
	v_fma_f64 v[166:167], v[14:15], s[28:29], -v[166:167]
	v_fma_f64 v[170:171], s[50:51], v[20:21], v[168:169]
	v_add_f64 v[166:167], v[166:167], v[28:29]
	v_fmac_f64_e32 v[168:169], s[30:31], v[20:21]
	v_mul_f64 v[28:29], v[18:19], s[48:49]
	v_add_f64 v[30:31], v[168:169], v[30:31]
	v_fma_f64 v[168:169], s[34:35], v[14:15], v[28:29]
	v_add_f64 v[168:169], v[168:169], v[22:23]
	v_mul_f64 v[22:23], v[16:17], s[34:35]
	v_add_f64 v[34:35], v[170:171], v[34:35]
	v_fma_f64 v[170:171], s[40:41], v[20:21], v[22:23]
	v_add_f64 v[170:171], v[170:171], v[26:27]
	v_fma_f64 v[26:27], v[14:15], s[34:35], -v[28:29]
	v_accvgpr_write_b32 a105, v73
	v_add_f64 v[164:165], v[26:27], v[164:165]
	v_fmac_f64_e32 v[22:23], s[48:49], v[20:21]
	v_add_f64 v[26:27], v[162:163], -v[146:147]
	v_accvgpr_write_b32 a104, v72
	v_accvgpr_write_b32 a111, v75
	v_add_f64 v[172:173], v[22:23], v[24:25]
	v_add_f64 v[22:23], v[160:161], v[144:145]
	;; [unrolled: 1-line block ×3, first 2 shown]
	v_mul_f64 v[72:73], v[26:27], s[60:61]
	v_accvgpr_write_b32 a110, v74
	v_add_f64 v[28:29], v[160:161], -v[144:145]
	v_mul_f64 v[74:75], v[24:25], s[16:17]
	v_fma_f64 v[174:175], v[22:23], s[16:17], -v[72:73]
	v_add_f64 v[174:175], v[174:175], v[0:1]
	v_fma_f64 v[0:1], s[60:61], v[28:29], v[74:75]
	v_add_f64 v[176:177], v[0:1], v[2:3]
	v_mul_f64 v[0:1], v[26:27], s[44:45]
	v_accvgpr_write_b32 a115, v1
	v_mul_f64 v[196:197], v[24:25], s[38:39]
	v_accvgpr_write_b32 a114, v0
	v_fma_f64 v[0:1], v[22:23], s[38:39], -v[0:1]
	v_add_f64 v[178:179], v[0:1], v[4:5]
	v_fma_f64 v[0:1], s[44:45], v[28:29], v[196:197]
	v_mul_f64 v[4:5], v[26:27], s[30:31]
	v_accvgpr_write_b32 a76, v206
	v_add_f64 v[198:199], v[0:1], v[6:7]
	v_accvgpr_write_b32 a77, v207
	v_accvgpr_write_b32 a78, v208
	;; [unrolled: 1-line block ×3, first 2 shown]
	v_mul_f64 v[206:207], v[24:25], s[28:29]
	v_fma_f64 v[0:1], v[22:23], s[28:29], -v[4:5]
	v_add_f64 v[208:209], v[0:1], v[8:9]
	v_fma_f64 v[0:1], s[30:31], v[28:29], v[206:207]
	v_accvgpr_write_b32 a80, v190
	v_accvgpr_write_b32 a81, v191
	;; [unrolled: 1-line block ×4, first 2 shown]
	v_add_f64 v[192:193], v[0:1], v[10:11]
	v_mul_f64 v[0:1], v[26:27], s[56:57]
	v_fma_f64 v[2:3], s[42:43], v[22:23], v[0:1]
	v_add_f64 v[200:201], v[2:3], v[32:33]
	v_mul_f64 v[2:3], v[24:25], s[42:43]
	v_fma_f64 v[0:1], v[22:23], s[42:43], -v[0:1]
	v_fma_f64 v[6:7], s[54:55], v[28:29], v[2:3]
	v_add_f64 v[180:181], v[0:1], v[166:167]
	v_fmac_f64_e32 v[2:3], s[56:57], v[28:29]
	v_mul_f64 v[0:1], v[26:27], s[22:23]
	v_add_f64 v[182:183], v[2:3], v[30:31]
	v_fma_f64 v[2:3], s[6:7], v[22:23], v[0:1]
	v_add_f64 v[184:185], v[2:3], v[168:169]
	v_mul_f64 v[2:3], v[24:25], s[6:7]
	v_accvgpr_write_b32 a109, v73
	v_accvgpr_write_b32 a113, v75
	v_add_f64 v[210:211], v[6:7], v[34:35]
	v_fma_f64 v[6:7], s[46:47], v[28:29], v[2:3]
	v_fmac_f64_e32 v[2:3], s[22:23], v[28:29]
	v_add_f64 v[34:35], v[158:159], -v[154:155]
	v_accvgpr_write_b32 a108, v72
	v_accvgpr_write_b32 a112, v74
	v_fma_f64 v[0:1], v[22:23], s[6:7], -v[0:1]
	v_add_f64 v[190:191], v[2:3], v[172:173]
	v_add_f64 v[30:31], v[156:157], v[152:153]
	;; [unrolled: 1-line block ×3, first 2 shown]
	v_mul_f64 v[2:3], v[34:35], s[56:57]
	v_mov_b64_e32 v[72:73], v[202:203]
	v_add_f64 v[186:187], v[6:7], v[170:171]
	v_add_f64 v[188:189], v[0:1], v[164:165]
	v_add_f64 v[0:1], v[156:157], -v[152:153]
	v_mov_b64_e32 v[74:75], v[204:205]
	v_mul_f64 v[204:205], v[32:33], s[42:43]
	v_fma_f64 v[6:7], v[30:31], s[42:43], -v[2:3]
	v_add_f64 v[172:173], v[6:7], v[174:175]
	v_fma_f64 v[6:7], s[56:57], v[0:1], v[204:205]
	v_add_f64 v[174:175], v[6:7], v[176:177]
	v_mul_f64 v[6:7], v[34:35], s[24:25]
	v_mul_f64 v[8:9], v[32:33], s[16:17]
	v_fma_f64 v[10:11], v[30:31], s[16:17], -v[6:7]
	v_add_f64 v[168:169], v[10:11], v[178:179]
	v_fma_f64 v[10:11], s[24:25], v[0:1], v[8:9]
	v_add_f64 v[170:171], v[10:11], v[198:199]
	v_mul_f64 v[198:199], v[32:33], s[34:35]
	v_fma_f64 v[166:167], s[48:49], v[0:1], v[198:199]
	v_add_f64 v[166:167], v[166:167], v[192:193]
	v_mul_f64 v[192:193], v[34:35], s[22:23]
	;; [unrolled: 3-line block ×3, first 2 shown]
	v_fma_f64 v[192:193], v[30:31], s[6:7], -v[192:193]
	v_fma_f64 v[178:179], s[46:47], v[0:1], v[200:201]
	v_add_f64 v[180:181], v[192:193], v[180:181]
	v_fmac_f64_e32 v[200:201], s[22:23], v[0:1]
	v_mul_f64 v[192:193], v[34:35], s[58:59]
	v_mul_f64 v[10:11], v[34:35], s[48:49]
	v_add_f64 v[182:183], v[200:201], v[182:183]
	v_fma_f64 v[200:201], s[0:1], v[30:31], v[192:193]
	v_fma_f64 v[164:165], v[30:31], s[34:35], -v[10:11]
	v_add_f64 v[184:185], v[200:201], v[184:185]
	v_mul_f64 v[200:201], v[32:33], s[0:1]
	v_add_f64 v[164:165], v[164:165], v[208:209]
	v_fma_f64 v[208:209], s[18:19], v[0:1], v[200:201]
	v_fma_f64 v[192:193], v[30:31], s[0:1], -v[192:193]
	v_fmac_f64_e32 v[200:201], s[58:59], v[0:1]
	v_add_f64 v[178:179], v[178:179], v[210:211]
	v_add_f64 v[186:187], v[208:209], v[186:187]
	;; [unrolled: 1-line block ×4, first 2 shown]
	s_barrier
	s_and_saveexec_b64 s[62:63], s[4:5]
	s_cbranch_execz .LBB0_17
; %bb.16:
	v_mul_f64 v[192:193], v[0:1], s[48:49]
	v_accvgpr_write_b32 a119, v87
	v_add_f64 v[192:193], v[198:199], -v[192:193]
	v_mul_f64 v[198:199], v[28:29], s[30:31]
	v_accvgpr_write_b32 a118, v86
	v_accvgpr_write_b32 a117, v85
	;; [unrolled: 1-line block ×3, first 2 shown]
	v_mov_b64_e32 v[84:85], v[2:3]
	v_accvgpr_read_b32 v2, a106
	v_add_f64 v[198:199], v[206:207], -v[198:199]
	v_mul_f64 v[206:207], v[12:13], s[58:59]
	v_accvgpr_read_b32 v3, a107
	v_add_f64 v[206:207], v[2:3], -v[206:207]
	v_accvgpr_read_b32 v2, a66
	v_mul_f64 v[208:209], v[248:249], s[26:27]
	v_accvgpr_read_b32 v3, a67
	v_add_f64 v[208:209], v[2:3], -v[208:209]
	v_accvgpr_read_b32 v2, a52
	v_mul_f64 v[210:211], v[240:241], s[44:45]
	v_accvgpr_read_b32 v3, a53
	v_mul_f64 v[200:201], v[20:21], s[54:55]
	v_add_f64 v[210:211], v[2:3], -v[210:211]
	v_accvgpr_read_b32 v2, a10
	v_add_f64 v[200:201], v[214:215], -v[200:201]
	v_mul_f64 v[214:215], v[232:233], s[46:47]
	v_accvgpr_read_b32 v3, a11
	v_add_f64 v[214:215], v[2:3], -v[214:215]
	v_accvgpr_read_b32 v2, a4
	v_accvgpr_write_b32 a106, v212
	v_accvgpr_write_b32 a1, v213
	v_mul_f64 v[212:213], v[226:227], s[24:25]
	v_accvgpr_read_b32 v3, a5
	v_add_f64 v[212:213], v[2:3], -v[212:213]
	v_add_f64 v[212:213], v[114:115], v[212:213]
	v_add_f64 v[212:213], v[214:215], v[212:213]
	;; [unrolled: 1-line block ×7, first 2 shown]
	v_mul_f64 v[200:201], v[30:31], s[34:35]
	v_add_f64 v[10:11], v[200:201], v[10:11]
	v_mul_f64 v[200:201], v[22:23], s[28:29]
	v_add_f64 v[4:5], v[200:201], v[4:5]
	v_mul_f64 v[200:201], v[14:15], s[42:43]
	v_accvgpr_read_b32 v2, a102
	v_add_f64 v[194:195], v[200:201], v[194:195]
	v_mul_f64 v[200:201], v[250:251], s[0:1]
	v_accvgpr_read_b32 v3, a103
	v_add_f64 v[200:201], v[200:201], v[2:3]
	v_accvgpr_read_b32 v2, a54
	v_mul_f64 v[210:211], v[242:243], s[20:21]
	v_accvgpr_read_b32 v3, a55
	v_add_f64 v[210:211], v[210:211], v[2:3]
	v_accvgpr_read_b32 v2, a14
	;; [unrolled: 4-line block ×3, first 2 shown]
	v_mul_f64 v[202:203], v[220:221], s[16:17]
	v_mul_f64 v[214:215], v[218:219], s[6:7]
	v_accvgpr_read_b32 v3, a7
	v_add_f64 v[202:203], v[202:203], v[66:67]
	v_accvgpr_write_b32 a52, v76
	v_add_f64 v[214:215], v[214:215], v[2:3]
	v_accvgpr_write_b32 a53, v77
	v_accvgpr_write_b32 a54, v78
	;; [unrolled: 1-line block ×3, first 2 shown]
	v_mov_b64_e32 v[76:77], v[38:39]
	v_add_f64 v[38:39], v[112:113], v[202:203]
	v_add_f64 v[38:39], v[214:215], v[38:39]
	v_add_f64 v[38:39], v[212:213], v[38:39]
	v_add_f64 v[38:39], v[210:211], v[38:39]
	v_add_f64 v[38:39], v[200:201], v[38:39]
	v_add_f64 v[38:39], v[194:195], v[38:39]
	v_add_f64 v[4:5], v[4:5], v[38:39]
	v_add_f64 v[194:195], v[192:193], v[198:199]
	v_add_f64 v[192:193], v[10:11], v[4:5]
	v_mul_f64 v[10:11], v[0:1], s[24:25]
	v_add_f64 v[8:9], v[8:9], -v[10:11]
	v_mul_f64 v[10:11], v[28:29], s[44:45]
	v_accvgpr_read_b32 v2, a110
	v_add_f64 v[10:11], v[196:197], -v[10:11]
	v_mul_f64 v[196:197], v[20:21], s[58:59]
	v_accvgpr_read_b32 v3, a111
	v_add_f64 v[196:197], v[2:3], -v[196:197]
	v_accvgpr_read_b32 v2, a98
	v_mul_f64 v[198:199], v[12:13], s[30:31]
	v_accvgpr_read_b32 v3, a99
	v_add_f64 v[198:199], v[2:3], -v[198:199]
	v_accvgpr_read_b32 v2, a64
	v_mov_b64_e32 v[78:79], v[40:41]
	v_mul_f64 v[40:41], v[248:249], s[40:41]
	v_accvgpr_read_b32 v3, a65
	v_add_f64 v[40:41], v[2:3], -v[40:41]
	v_accvgpr_write_b32 a64, v80
	v_accvgpr_read_b32 v2, a12
	v_accvgpr_write_b32 a65, v81
	v_accvgpr_write_b32 a66, v82
	;; [unrolled: 1-line block ×3, first 2 shown]
	v_mov_b64_e32 v[80:81], v[42:43]
	v_mul_f64 v[42:43], v[240:241], s[56:57]
	v_accvgpr_read_b32 v3, a13
	v_mul_f64 v[202:203], v[226:227], s[22:23]
	v_add_f64 v[42:43], v[2:3], -v[42:43]
	v_accvgpr_read_b32 v2, a8
	v_mul_f64 v[214:215], v[232:233], s[36:37]
	v_accvgpr_write_b32 a4, v46
	v_accvgpr_read_b32 v3, a9
	v_add_f64 v[202:203], v[60:61], -v[202:203]
	v_accvgpr_write_b32 a8, v50
	v_accvgpr_write_b32 a5, v47
	;; [unrolled: 1-line block ×4, first 2 shown]
	v_add_f64 v[46:47], v[2:3], -v[214:215]
	v_accvgpr_write_b32 a9, v51
	v_accvgpr_write_b32 a10, v52
	;; [unrolled: 1-line block ×3, first 2 shown]
	v_add_f64 v[50:51], v[114:115], v[202:203]
	v_add_f64 v[46:47], v[46:47], v[50:51]
	;; [unrolled: 1-line block ×7, first 2 shown]
	v_mul_f64 v[40:41], v[30:31], s[16:17]
	v_accvgpr_read_b32 v2, a114
	v_add_f64 v[6:7], v[40:41], v[6:7]
	v_mul_f64 v[40:41], v[22:23], s[38:39]
	v_accvgpr_read_b32 v3, a115
	v_add_f64 v[40:41], v[40:41], v[2:3]
	v_accvgpr_read_b32 v2, a104
	v_mul_f64 v[196:197], v[14:15], s[0:1]
	v_accvgpr_read_b32 v3, a105
	v_add_f64 v[196:197], v[196:197], v[2:3]
	v_accvgpr_read_b32 v2, a94
	v_mul_f64 v[198:199], v[250:251], s[28:29]
	v_accvgpr_write_b32 a12, v54
	v_accvgpr_read_b32 v3, a95
	v_accvgpr_write_b32 a13, v55
	v_accvgpr_write_b32 a14, v56
	v_accvgpr_write_b32 a15, v57
	v_add_f64 v[54:55], v[198:199], v[2:3]
	v_accvgpr_read_b32 v2, a88
	v_mov_b64_e32 v[66:67], v[36:37]
	v_mul_f64 v[36:37], v[220:221], s[6:7]
	v_mul_f64 v[50:51], v[242:243], s[34:35]
	v_accvgpr_read_b32 v3, a89
	v_accvgpr_read_b32 v60, a68
	v_mul_f64 v[200:201], v[218:219], s[20:21]
	v_add_f64 v[50:51], v[50:51], v[2:3]
	v_accvgpr_read_b32 v2, a74
	v_accvgpr_read_b32 v61, a69
	v_add_f64 v[198:199], v[8:9], v[10:11]
	v_add_f64 v[8:9], v[36:37], v[78:79]
	v_mov_b64_e32 v[82:83], v[44:45]
	v_mul_f64 v[44:45], v[234:235], s[42:43]
	v_accvgpr_read_b32 v3, a75
	v_add_f64 v[200:201], v[200:201], v[60:61]
	v_add_f64 v[8:9], v[112:113], v[8:9]
	;; [unrolled: 1-line block ×5, first 2 shown]
	v_accvgpr_read_b32 v36, a92
	v_mul_f64 v[42:43], v[12:13], s[40:41]
	v_add_f64 v[8:9], v[50:51], v[8:9]
	v_accvgpr_read_b32 v37, a93
	v_mul_f64 v[206:207], v[226:227], s[18:19]
	v_add_f64 v[8:9], v[54:55], v[8:9]
	v_add_f64 v[36:37], v[36:37], -v[42:43]
	v_accvgpr_read_b32 v42, a72
	v_mul_f64 v[210:211], v[232:233], s[30:31]
	v_mul_f64 v[4:5], v[240:241], s[46:47]
	v_add_f64 v[8:9], v[196:197], v[8:9]
	v_accvgpr_read_b32 v43, a73
	v_add_f64 v[44:45], v[66:67], -v[206:207]
	v_add_f64 v[8:9], v[40:41], v[8:9]
	v_accvgpr_read_b32 v40, a86
	v_add_f64 v[4:5], v[42:43], -v[4:5]
	v_add_f64 v[42:43], v[82:83], -v[210:211]
	v_add_f64 v[44:45], v[114:115], v[44:45]
	v_mul_f64 v[48:49], v[248:249], s[52:53]
	v_accvgpr_read_b32 v41, a87
	v_add_f64 v[42:43], v[42:43], v[44:45]
	v_accvgpr_read_b32 v10, a100
	v_add_f64 v[40:41], v[40:41], -v[48:49]
	v_add_f64 v[4:5], v[4:5], v[42:43]
	v_mul_f64 v[52:53], v[20:21], s[26:27]
	v_add_f64 v[196:197], v[6:7], v[8:9]
	v_accvgpr_read_b32 v8, a112
	v_accvgpr_read_b32 v11, a101
	v_add_f64 v[4:5], v[40:41], v[4:5]
	v_accvgpr_write_b32 a3, v58
	v_mul_f64 v[58:59], v[28:29], s[60:61]
	v_accvgpr_read_b32 v9, a113
	v_add_f64 v[10:11], v[10:11], -v[52:53]
	v_add_f64 v[4:5], v[36:37], v[4:5]
	v_mul_f64 v[60:61], v[0:1], s[56:57]
	v_add_f64 v[8:9], v[8:9], -v[58:59]
	v_add_f64 v[4:5], v[10:11], v[4:5]
	v_mul_f64 v[208:209], v[220:221], s[0:1]
	v_add_f64 v[6:7], v[204:205], -v[60:61]
	v_add_f64 v[4:5], v[8:9], v[4:5]
	v_accvgpr_read_b32 v36, a70
	v_mul_f64 v[212:213], v[218:219], s[28:29]
	v_mul_f64 v[38:39], v[234:235], s[6:7]
	v_add_f64 v[206:207], v[6:7], v[4:5]
	v_accvgpr_read_b32 v4, a108
	v_accvgpr_read_b32 v37, a71
	v_add_f64 v[40:41], v[208:209], v[76:77]
	v_mul_f64 v[56:57], v[22:23], s[16:17]
	v_accvgpr_read_b32 v5, a109
	v_accvgpr_read_b32 v8, a90
	v_accvgpr_read_b32 v10, a84
	v_add_f64 v[36:37], v[38:39], v[36:37]
	v_add_f64 v[38:39], v[212:213], v[80:81]
	;; [unrolled: 1-line block ×3, first 2 shown]
	v_mul_f64 v[54:55], v[226:227], s[40:41]
	v_mul_f64 v[214:215], v[242:243], s[38:39]
	;; [unrolled: 1-line block ×3, first 2 shown]
	v_add_f64 v[4:5], v[56:57], v[4:5]
	v_accvgpr_read_b32 v9, a91
	v_accvgpr_read_b32 v11, a85
	v_add_f64 v[38:39], v[38:39], v[40:41]
	v_mul_f64 v[50:51], v[232:233], s[24:25]
	v_fma_f64 v[56:57], s[34:35], v[222:223], v[54:55]
	v_accvgpr_read_b32 v6, a96
	v_add_f64 v[8:9], v[46:47], v[8:9]
	v_add_f64 v[10:11], v[214:215], v[10:11]
	v_accvgpr_read_b32 v83, a67
	v_add_f64 v[36:37], v[36:37], v[38:39]
	v_mul_f64 v[46:47], v[240:241], s[50:51]
	v_fma_f64 v[52:53], s[16:17], v[228:229], v[50:51]
	v_add_f64 v[56:57], v[114:115], v[56:57]
	v_mul_f64 v[212:213], v[224:225], s[40:41]
	v_mul_f64 v[202:203], v[14:15], s[20:21]
	v_accvgpr_read_b32 v7, a97
	v_accvgpr_read_b32 v82, a66
	;; [unrolled: 1-line block ×4, first 2 shown]
	v_add_f64 v[10:11], v[10:11], v[36:37]
	v_mul_f64 v[42:43], v[248:249], s[46:47]
	v_fma_f64 v[48:49], s[28:29], v[236:237], v[46:47]
	v_add_f64 v[52:53], v[52:53], v[56:57]
	v_accvgpr_write_b32 a67, v65
	v_mul_f64 v[208:209], v[230:231], s[24:25]
	v_fma_f64 v[214:215], v[220:221], s[34:35], -v[212:213]
	v_add_f64 v[6:7], v[202:203], v[6:7]
	v_add_f64 v[8:9], v[8:9], v[10:11]
	v_mul_f64 v[38:39], v[12:13], s[56:57]
	v_fma_f64 v[44:45], s[6:7], v[244:245], v[42:43]
	v_add_f64 v[48:49], v[48:49], v[52:53]
	v_accvgpr_write_b32 a66, v64
	v_accvgpr_write_b32 a65, v63
	;; [unrolled: 1-line block ×3, first 2 shown]
	v_mul_f64 v[62:63], v[238:239], s[50:51]
	v_fma_f64 v[210:211], v[218:219], s[16:17], -v[208:209]
	v_add_f64 v[214:215], v[112:113], v[214:215]
	v_mul_f64 v[2:3], v[30:31], s[42:43]
	v_add_f64 v[6:7], v[6:7], v[8:9]
	v_mul_f64 v[10:11], v[20:21], s[44:45]
	v_fma_f64 v[40:41], s[42:43], v[252:253], v[38:39]
	v_add_f64 v[44:45], v[44:45], v[48:49]
	v_mul_f64 v[58:59], v[246:247], s[46:47]
	v_fma_f64 v[200:201], v[234:235], s[28:29], -v[62:63]
	v_add_f64 v[210:211], v[210:211], v[214:215]
	v_add_f64 v[2:3], v[2:3], v[84:85]
	;; [unrolled: 1-line block ×3, first 2 shown]
	v_mul_f64 v[6:7], v[28:29], s[18:19]
	v_fma_f64 v[36:37], s[38:39], v[16:17], v[10:11]
	v_add_f64 v[40:41], v[40:41], v[44:45]
	v_mul_f64 v[52:53], v[254:255], s[56:57]
	v_fma_f64 v[60:61], v[242:243], s[6:7], -v[58:59]
	v_add_f64 v[200:201], v[200:201], v[210:211]
	v_add_f64 v[204:205], v[2:3], v[4:5]
	v_mul_f64 v[2:3], v[0:1], s[26:27]
	v_fma_f64 v[8:9], s[0:1], v[24:25], v[6:7]
	v_add_f64 v[36:37], v[36:37], v[40:41]
	v_mul_f64 v[44:45], v[18:19], s[44:45]
	v_fma_f64 v[56:57], v[250:251], s[42:43], -v[52:53]
	v_add_f64 v[60:61], v[60:61], v[200:201]
	v_fma_f64 v[4:5], s[20:21], v[32:33], v[2:3]
	v_add_f64 v[8:9], v[8:9], v[36:37]
	v_mul_f64 v[36:37], v[26:27], s[18:19]
	v_fma_f64 v[48:49], v[14:15], s[38:39], -v[44:45]
	v_add_f64 v[56:57], v[56:57], v[60:61]
	v_add_f64 v[202:203], v[4:5], v[8:9]
	v_mul_f64 v[4:5], v[34:35], s[26:27]
	v_fma_f64 v[40:41], v[22:23], s[0:1], -v[36:37]
	v_add_f64 v[48:49], v[48:49], v[56:57]
	v_fma_f64 v[8:9], v[30:31], s[20:21], -v[4:5]
	v_add_f64 v[40:41], v[40:41], v[48:49]
	v_add_f64 v[200:201], v[8:9], v[40:41]
	v_fma_f64 v[40:41], v[236:237], s[28:29], -v[46:47]
	v_fma_f64 v[46:47], v[222:223], s[34:35], -v[54:55]
	;; [unrolled: 1-line block ×6, first 2 shown]
	v_add_f64 v[46:47], v[114:115], v[46:47]
	v_add_f64 v[42:43], v[42:43], v[46:47]
	;; [unrolled: 1-line block ×5, first 2 shown]
	v_fma_f64 v[6:7], v[24:25], s[0:1], -v[6:7]
	v_add_f64 v[8:9], v[8:9], v[10:11]
	v_fma_f64 v[2:3], v[32:33], s[20:21], -v[2:3]
	v_add_f64 v[6:7], v[6:7], v[8:9]
	v_fmac_f64_e32 v[212:213], s[34:35], v[220:221]
	v_add_f64 v[214:215], v[2:3], v[6:7]
	v_fmac_f64_e32 v[208:209], s[16:17], v[218:219]
	v_add_f64 v[2:3], v[112:113], v[212:213]
	v_fmac_f64_e32 v[62:63], s[28:29], v[234:235]
	v_add_f64 v[2:3], v[208:209], v[2:3]
	v_accvgpr_read_b32 v79, a55
	v_fmac_f64_e32 v[58:59], s[6:7], v[242:243]
	v_add_f64 v[2:3], v[62:63], v[2:3]
	v_mul_f64 v[54:55], v[226:227], s[54:55]
	v_accvgpr_read_b32 v78, a54
	v_accvgpr_read_b32 v77, a53
	;; [unrolled: 1-line block ×3, first 2 shown]
	v_fmac_f64_e32 v[52:53], s[42:43], v[250:251]
	v_add_f64 v[2:3], v[58:59], v[2:3]
	v_mul_f64 v[50:51], v[232:233], s[18:19]
	v_fma_f64 v[56:57], s[42:43], v[222:223], v[54:55]
	v_accvgpr_write_b32 a52, v68
	v_add_f64 v[2:3], v[52:53], v[2:3]
	v_mul_f64 v[46:47], v[240:241], s[24:25]
	v_fma_f64 v[52:53], s[0:1], v[228:229], v[50:51]
	v_add_f64 v[56:57], v[114:115], v[56:57]
	v_accvgpr_write_b32 a53, v69
	v_accvgpr_write_b32 a54, v70
	;; [unrolled: 1-line block ×3, first 2 shown]
	v_mul_f64 v[68:69], v[224:225], s[54:55]
	v_fmac_f64_e32 v[44:45], s[38:39], v[14:15]
	v_mul_f64 v[42:43], v[248:249], s[30:31]
	v_fma_f64 v[48:49], s[16:17], v[236:237], v[46:47]
	v_add_f64 v[52:53], v[52:53], v[56:57]
	v_mul_f64 v[64:65], v[230:231], s[18:19]
	v_fma_f64 v[70:71], v[220:221], s[42:43], -v[68:69]
	v_add_f64 v[2:3], v[44:45], v[2:3]
	v_mul_f64 v[38:39], v[12:13], s[36:37]
	v_fma_f64 v[44:45], s[28:29], v[244:245], v[42:43]
	v_add_f64 v[48:49], v[48:49], v[52:53]
	v_mul_f64 v[62:63], v[238:239], s[24:25]
	v_fma_f64 v[66:67], v[218:219], s[0:1], -v[64:65]
	v_add_f64 v[70:71], v[112:113], v[70:71]
	v_fmac_f64_e32 v[36:37], s[0:1], v[22:23]
	v_mul_f64 v[10:11], v[20:21], s[46:47]
	v_fma_f64 v[40:41], s[20:21], v[252:253], v[38:39]
	v_add_f64 v[44:45], v[44:45], v[48:49]
	v_mul_f64 v[58:59], v[246:247], s[30:31]
	v_fma_f64 v[208:209], v[234:235], s[16:17], -v[62:63]
	v_add_f64 v[66:67], v[66:67], v[70:71]
	v_fmac_f64_e32 v[4:5], s[20:21], v[30:31]
	v_add_f64 v[2:3], v[36:37], v[2:3]
	v_mul_f64 v[6:7], v[28:29], s[48:49]
	v_fma_f64 v[36:37], s[6:7], v[16:17], v[10:11]
	v_add_f64 v[40:41], v[40:41], v[44:45]
	v_mul_f64 v[52:53], v[254:255], s[36:37]
	v_fma_f64 v[60:61], v[242:243], s[28:29], -v[58:59]
	v_add_f64 v[66:67], v[208:209], v[66:67]
	v_add_f64 v[212:213], v[4:5], v[2:3]
	v_mul_f64 v[2:3], v[0:1], s[52:53]
	v_fma_f64 v[8:9], s[34:35], v[24:25], v[6:7]
	v_add_f64 v[36:37], v[36:37], v[40:41]
	v_mul_f64 v[44:45], v[18:19], s[46:47]
	v_fma_f64 v[56:57], v[250:251], s[20:21], -v[52:53]
	v_add_f64 v[60:61], v[60:61], v[66:67]
	v_fma_f64 v[4:5], s[38:39], v[32:33], v[2:3]
	v_add_f64 v[8:9], v[8:9], v[36:37]
	v_mul_f64 v[36:37], v[26:27], s[48:49]
	v_fma_f64 v[48:49], v[14:15], s[6:7], -v[44:45]
	v_add_f64 v[56:57], v[56:57], v[60:61]
	v_add_f64 v[210:211], v[4:5], v[8:9]
	v_mul_f64 v[8:9], v[34:35], s[52:53]
	v_fma_f64 v[40:41], v[22:23], s[34:35], -v[36:37]
	v_add_f64 v[48:49], v[48:49], v[56:57]
	v_fma_f64 v[4:5], v[30:31], s[38:39], -v[8:9]
	v_add_f64 v[40:41], v[40:41], v[48:49]
	v_add_f64 v[208:209], v[4:5], v[40:41]
	v_fma_f64 v[40:41], v[236:237], s[16:17], -v[46:47]
	v_fma_f64 v[46:47], v[222:223], s[42:43], -v[54:55]
	;; [unrolled: 1-line block ×7, first 2 shown]
	v_add_f64 v[46:47], v[114:115], v[46:47]
	v_add_f64 v[42:43], v[42:43], v[46:47]
	;; [unrolled: 1-line block ×6, first 2 shown]
	v_fma_f64 v[2:3], v[32:33], s[38:39], -v[2:3]
	v_add_f64 v[4:5], v[4:5], v[6:7]
	v_fmac_f64_e32 v[68:69], s[42:43], v[220:221]
	v_add_f64 v[4:5], v[2:3], v[4:5]
	v_fmac_f64_e32 v[64:65], s[0:1], v[218:219]
	;; [unrolled: 2-line block ×5, first 2 shown]
	v_add_f64 v[2:3], v[58:59], v[2:3]
	v_mul_f64 v[50:51], v[226:227], s[44:45]
	v_add_f64 v[2:3], v[52:53], v[2:3]
	v_mul_f64 v[46:47], v[232:233], s[54:55]
	v_fma_f64 v[52:53], s[38:39], v[222:223], v[50:51]
	v_fmac_f64_e32 v[44:45], s[6:7], v[14:15]
	v_mul_f64 v[42:43], v[240:241], s[40:41]
	v_fma_f64 v[48:49], s[42:43], v[228:229], v[46:47]
	v_add_f64 v[52:53], v[114:115], v[52:53]
	v_mul_f64 v[62:63], v[224:225], s[44:45]
	v_add_f64 v[2:3], v[44:45], v[2:3]
	v_mul_f64 v[38:39], v[248:249], s[18:19]
	v_fma_f64 v[44:45], s[34:35], v[236:237], v[42:43]
	v_add_f64 v[48:49], v[48:49], v[52:53]
	v_mul_f64 v[58:59], v[230:231], s[54:55]
	v_fma_f64 v[64:65], v[220:221], s[38:39], -v[62:63]
	v_fmac_f64_e32 v[36:37], s[34:35], v[22:23]
	v_mul_f64 v[12:13], v[12:13], s[22:23]
	v_fma_f64 v[40:41], s[0:1], v[244:245], v[38:39]
	v_add_f64 v[44:45], v[44:45], v[48:49]
	v_mul_f64 v[54:55], v[238:239], s[40:41]
	v_fma_f64 v[60:61], v[218:219], s[42:43], -v[58:59]
	v_add_f64 v[64:65], v[112:113], v[64:65]
	v_add_f64 v[2:3], v[36:37], v[2:3]
	v_fma_f64 v[36:37], s[6:7], v[252:253], v[12:13]
	v_add_f64 v[40:41], v[40:41], v[44:45]
	v_mul_f64 v[48:49], v[246:247], s[18:19]
	v_fma_f64 v[56:57], v[234:235], s[34:35], -v[54:55]
	v_add_f64 v[60:61], v[60:61], v[64:65]
	v_mul_f64 v[20:21], v[20:21], s[24:25]
	v_add_f64 v[36:37], v[36:37], v[40:41]
	v_mul_f64 v[40:41], v[254:255], s[22:23]
	v_fma_f64 v[52:53], v[242:243], s[0:1], -v[48:49]
	v_add_f64 v[56:57], v[56:57], v[60:61]
	v_fmac_f64_e32 v[8:9], s[38:39], v[30:31]
	v_mul_f64 v[10:11], v[28:29], s[26:27]
	v_fma_f64 v[28:29], s[16:17], v[16:17], v[20:21]
	v_mul_f64 v[18:19], v[18:19], s[24:25]
	v_fma_f64 v[44:45], v[250:251], s[6:7], -v[40:41]
	v_add_f64 v[52:53], v[52:53], v[56:57]
	v_add_f64 v[2:3], v[8:9], v[2:3]
	v_mul_f64 v[0:1], v[0:1], s[30:31]
	v_fma_f64 v[8:9], s[20:21], v[24:25], v[10:11]
	v_add_f64 v[28:29], v[28:29], v[36:37]
	v_mul_f64 v[26:27], v[26:27], s[26:27]
	v_fma_f64 v[36:37], v[14:15], s[16:17], -v[18:19]
	v_add_f64 v[44:45], v[44:45], v[52:53]
	v_fma_f64 v[6:7], s[28:29], v[32:33], v[0:1]
	v_add_f64 v[8:9], v[8:9], v[28:29]
	v_mul_f64 v[28:29], v[34:35], s[30:31]
	v_fma_f64 v[34:35], v[22:23], s[20:21], -v[26:27]
	v_add_f64 v[36:37], v[36:37], v[44:45]
	v_add_f64 v[8:9], v[6:7], v[8:9]
	v_fma_f64 v[6:7], v[30:31], s[28:29], -v[28:29]
	v_add_f64 v[34:35], v[34:35], v[36:37]
	v_add_f64 v[6:7], v[6:7], v[34:35]
	v_fma_f64 v[34:35], v[222:223], s[38:39], -v[50:51]
	v_fma_f64 v[0:1], v[32:33], s[28:29], -v[0:1]
	;; [unrolled: 1-line block ×3, first 2 shown]
	v_add_f64 v[34:35], v[114:115], v[34:35]
	v_fma_f64 v[10:11], v[24:25], s[20:21], -v[10:11]
	v_fma_f64 v[24:25], v[236:237], s[34:35], -v[42:43]
	v_add_f64 v[32:33], v[32:33], v[34:35]
	v_fma_f64 v[16:17], v[16:17], s[16:17], -v[20:21]
	v_fma_f64 v[20:21], v[244:245], s[0:1], -v[38:39]
	v_add_f64 v[24:25], v[24:25], v[32:33]
	v_fma_f64 v[12:13], v[252:253], s[6:7], -v[12:13]
	v_add_f64 v[20:21], v[20:21], v[24:25]
	v_add_f64 v[12:13], v[12:13], v[20:21]
	;; [unrolled: 1-line block ×4, first 2 shown]
	v_fmac_f64_e32 v[62:63], s[38:39], v[220:221]
	v_add_f64 v[12:13], v[0:1], v[10:11]
	v_fmac_f64_e32 v[58:59], s[42:43], v[218:219]
	v_add_f64 v[0:1], v[112:113], v[62:63]
	;; [unrolled: 2-line block ×8, first 2 shown]
	v_add_f64 v[10:11], v[28:29], v[0:1]
	v_add_f64 v[0:1], v[114:115], v[118:119]
	;; [unrolled: 1-line block ×13, first 2 shown]
	v_accvgpr_read_b32 v14, a76
	v_add_f64 v[0:1], v[0:1], v[110:111]
	v_accvgpr_read_b32 v16, a78
	v_accvgpr_read_b32 v17, a79
	v_add_f64 v[0:1], v[0:1], v[16:17]
	v_accvgpr_read_b32 v18, a80
	v_add_f64 v[0:1], v[0:1], v[74:75]
	v_accvgpr_read_b32 v20, a82
	v_accvgpr_read_b32 v21, a83
	v_add_f64 v[16:17], v[0:1], v[20:21]
	v_add_f64 v[0:1], v[112:113], v[116:117]
	;; [unrolled: 1-line block ×13, first 2 shown]
	v_accvgpr_read_b32 v15, a77
	v_add_f64 v[0:1], v[0:1], v[108:109]
	v_add_f64 v[0:1], v[0:1], v[14:15]
	v_accvgpr_read_b32 v19, a81
	v_add_f64 v[0:1], v[0:1], v[72:73]
	v_add_f64 v[14:15], v[0:1], v[18:19]
	v_accvgpr_read_b32 v0, a106
	v_accvgpr_read_b32 v84, a116
	;; [unrolled: 1-line block ×7, first 2 shown]
	v_lshlrev_b32_e32 v0, 4, v0
	v_accvgpr_read_b32 v85, a117
	v_accvgpr_read_b32 v86, a118
	v_accvgpr_read_b32 v87, a119
	v_accvgpr_read_b32 v70, a54
	v_accvgpr_read_b32 v69, a53
	v_accvgpr_read_b32 v68, a52
	v_accvgpr_read_b32 v52, a10
	v_accvgpr_read_b32 v51, a9
	v_accvgpr_read_b32 v50, a8
	v_accvgpr_read_b32 v63, a65
	v_accvgpr_read_b32 v64, a66
	v_accvgpr_read_b32 v65, a67
	v_accvgpr_read_b32 v58, a3
	v_accvgpr_read_b32 v56, a14
	v_accvgpr_read_b32 v55, a13
	v_accvgpr_read_b32 v54, a12
	v_accvgpr_read_b32 v48, a6
	v_accvgpr_read_b32 v47, a5
	v_accvgpr_read_b32 v46, a4
	ds_write_b128 v0, v[14:17]
	ds_write_b128 v0, v[10:13] offset:16
	ds_write_b128 v0, v[2:5] offset:32
	ds_write_b128 v0, v[212:215] offset:48
	v_accvgpr_read_b32 v213, a1
	ds_write_b128 v0, v[204:207] offset:64
	ds_write_b128 v0, v[196:199] offset:80
	;; [unrolled: 1-line block ×13, first 2 shown]
.LBB0_17:
	s_or_b64 exec, exec, s[62:63]
	s_waitcnt lgkmcnt(0)
	s_barrier
	ds_read_b128 v[0:3], v216
	ds_read_b128 v[120:123], v216 offset:3536
	ds_read_b128 v[116:119], v216 offset:7072
	;; [unrolled: 1-line block ×6, first 2 shown]
	s_and_saveexec_b64 s[0:1], s[2:3]
	s_cbranch_execz .LBB0_19
; %bb.18:
	ds_read_b128 v[176:179], v216 offset:1904
	ds_read_b128 v[184:187], v216 offset:5440
	;; [unrolled: 1-line block ×7, first 2 shown]
.LBB0_19:
	s_or_b64 exec, exec, s[0:1]
	v_accvgpr_read_b32 v16, a40
	v_accvgpr_read_b32 v18, a42
	;; [unrolled: 1-line block ×5, first 2 shown]
	s_waitcnt lgkmcnt(5)
	v_mul_f64 v[12:13], v[18:19], v[122:123]
	v_mul_f64 v[14:15], v[18:19], v[120:121]
	v_accvgpr_read_b32 v22, a34
	v_accvgpr_read_b32 v23, a35
	;; [unrolled: 1-line block ×3, first 2 shown]
	v_fmac_f64_e32 v[12:13], v[16:17], v[120:121]
	v_fma_f64 v[14:15], v[16:17], v[122:123], -v[14:15]
	v_accvgpr_read_b32 v21, a33
	s_waitcnt lgkmcnt(4)
	v_mul_f64 v[16:17], v[22:23], v[118:119]
	v_mul_f64 v[18:19], v[22:23], v[116:117]
	v_accvgpr_read_b32 v26, a38
	v_accvgpr_read_b32 v27, a39
	;; [unrolled: 1-line block ×3, first 2 shown]
	v_fmac_f64_e32 v[16:17], v[20:21], v[116:117]
	v_fma_f64 v[18:19], v[20:21], v[118:119], -v[18:19]
	v_accvgpr_read_b32 v25, a37
	s_waitcnt lgkmcnt(3)
	v_mul_f64 v[20:21], v[26:27], v[114:115]
	v_mul_f64 v[22:23], v[26:27], v[112:113]
	v_accvgpr_read_b32 v30, a30
	v_accvgpr_read_b32 v31, a31
	v_fmac_f64_e32 v[20:21], v[24:25], v[112:113]
	v_fma_f64 v[22:23], v[24:25], v[114:115], -v[22:23]
	s_waitcnt lgkmcnt(2)
	v_mul_f64 v[24:25], v[30:31], v[110:111]
	v_mul_f64 v[26:27], v[30:31], v[108:109]
	v_accvgpr_read_b32 v30, a48
	v_accvgpr_read_b32 v29, a29
	;; [unrolled: 1-line block ×4, first 2 shown]
	v_fmac_f64_e32 v[24:25], v[28:29], v[108:109]
	v_fma_f64 v[26:27], v[28:29], v[110:111], -v[26:27]
	v_accvgpr_read_b32 v31, a49
	s_waitcnt lgkmcnt(1)
	v_mul_f64 v[28:29], v[32:33], v[10:11]
	v_fmac_f64_e32 v[28:29], v[30:31], v[8:9]
	v_mul_f64 v[8:9], v[32:33], v[8:9]
	v_fma_f64 v[8:9], v[30:31], v[10:11], -v[8:9]
	v_accvgpr_read_b32 v30, a44
	v_accvgpr_read_b32 v32, a46
	;; [unrolled: 1-line block ×4, first 2 shown]
	s_waitcnt lgkmcnt(0)
	v_mul_f64 v[10:11], v[32:33], v[6:7]
	v_fmac_f64_e32 v[10:11], v[30:31], v[4:5]
	v_mul_f64 v[4:5], v[32:33], v[4:5]
	v_fma_f64 v[4:5], v[30:31], v[6:7], -v[4:5]
	v_add_f64 v[6:7], v[12:13], v[10:11]
	v_add_f64 v[10:11], v[12:13], -v[10:11]
	v_add_f64 v[12:13], v[16:17], v[28:29]
	v_add_f64 v[30:31], v[14:15], v[4:5]
	v_add_f64 v[4:5], v[14:15], -v[4:5]
	v_add_f64 v[14:15], v[18:19], v[8:9]
	v_add_f64 v[8:9], v[18:19], -v[8:9]
	;; [unrolled: 2-line block ×6, first 2 shown]
	v_add_f64 v[6:7], v[6:7], -v[18:19]
	v_add_f64 v[12:13], v[18:19], -v[12:13]
	v_add_f64 v[18:19], v[18:19], v[24:25]
	v_add_f64 v[24:25], v[28:29], v[26:27]
	;; [unrolled: 1-line block ×3, first 2 shown]
	s_mov_b32 s16, 0x37e14327
	s_mov_b32 s18, 0x36b3c0b5
	s_mov_b32 s20, 0xe976ee23
	s_mov_b32 s0, 0x429ad128
	s_mov_b32 s28, 0xaaaaaaaa
	v_add_f64 v[34:35], v[14:15], -v[30:31]
	v_add_f64 v[30:31], v[30:31], -v[28:29]
	;; [unrolled: 1-line block ×3, first 2 shown]
	v_add_f64 v[36:37], v[20:21], v[16:17]
	v_add_f64 v[38:39], v[22:23], v[8:9]
	v_add_f64 v[40:41], v[20:21], -v[16:17]
	v_add_f64 v[42:43], v[22:23], -v[8:9]
	;; [unrolled: 1-line block ×4, first 2 shown]
	v_add_f64 v[2:3], v[2:3], v[24:25]
	s_mov_b32 s17, 0x3fe948f6
	s_mov_b32 s19, 0x3fac98ee
	;; [unrolled: 1-line block ×5, first 2 shown]
	v_mov_b64_e32 v[44:45], v[0:1]
	s_mov_b32 s6, 0x5476071b
	s_mov_b32 s30, 0xb247c609
	v_add_f64 v[20:21], v[10:11], -v[20:21]
	v_add_f64 v[22:23], v[4:5], -v[22:23]
	v_add_f64 v[10:11], v[36:37], v[10:11]
	v_add_f64 v[4:5], v[38:39], v[4:5]
	v_mul_f64 v[6:7], v[6:7], s[16:17]
	v_mul_f64 v[26:27], v[30:31], s[16:17]
	;; [unrolled: 1-line block ×8, first 2 shown]
	v_fmac_f64_e32 v[44:45], s[28:29], v[18:19]
	v_mov_b64_e32 v[18:19], v[2:3]
	s_mov_b32 s7, 0x3fe77f67
	s_mov_b32 s23, 0xbfe77f67
	;; [unrolled: 1-line block ×7, first 2 shown]
	v_fmac_f64_e32 v[18:19], s[28:29], v[24:25]
	v_fma_f64 v[24:25], v[32:33], s[6:7], -v[28:29]
	v_fma_f64 v[28:29], v[34:35], s[6:7], -v[30:31]
	;; [unrolled: 1-line block ×3, first 2 shown]
	v_fmac_f64_e32 v[6:7], s[18:19], v[12:13]
	v_fma_f64 v[12:13], v[34:35], s[22:23], -v[26:27]
	v_fmac_f64_e32 v[26:27], s[18:19], v[14:15]
	v_fma_f64 v[32:33], v[16:17], s[0:1], -v[36:37]
	;; [unrolled: 2-line block ×4, first 2 shown]
	v_fma_f64 v[20:21], v[22:23], s[26:27], -v[42:43]
	s_mov_b32 s25, 0xbfdc38aa
	v_add_f64 v[40:41], v[6:7], v[44:45]
	v_add_f64 v[26:27], v[26:27], v[18:19]
	;; [unrolled: 1-line block ×6, first 2 shown]
	v_fmac_f64_e32 v[36:37], s[24:25], v[10:11]
	v_fmac_f64_e32 v[38:39], s[24:25], v[4:5]
	v_fmac_f64_e32 v[32:33], s[24:25], v[10:11]
	v_fmac_f64_e32 v[16:17], s[24:25], v[4:5]
	v_fmac_f64_e32 v[34:35], s[24:25], v[10:11]
	v_fmac_f64_e32 v[20:21], s[24:25], v[4:5]
	v_add_f64 v[4:5], v[38:39], v[40:41]
	v_add_f64 v[6:7], v[26:27], -v[36:37]
	v_add_f64 v[8:9], v[20:21], v[28:29]
	v_add_f64 v[10:11], v[30:31], -v[34:35]
	v_add_f64 v[12:13], v[22:23], -v[16:17]
	v_add_f64 v[14:15], v[32:33], v[24:25]
	v_add_f64 v[16:17], v[16:17], v[22:23]
	v_add_f64 v[18:19], v[24:25], -v[32:33]
	v_add_f64 v[20:21], v[28:29], -v[20:21]
	v_add_f64 v[22:23], v[34:35], v[30:31]
	v_add_f64 v[24:25], v[40:41], -v[38:39]
	v_add_f64 v[26:27], v[36:37], v[26:27]
	s_barrier
	ds_write_b128 v58, v[0:3]
	ds_write_b128 v58, v[4:7] offset:272
	ds_write_b128 v58, v[8:11] offset:544
	;; [unrolled: 1-line block ×6, first 2 shown]
	s_and_saveexec_b64 s[34:35], s[2:3]
	s_cbranch_execz .LBB0_21
; %bb.20:
	v_accvgpr_read_b32 v33, a19
	v_accvgpr_read_b32 v41, a27
	;; [unrolled: 1-line block ×8, first 2 shown]
	v_mul_f64 v[0:1], v[32:33], v[186:187]
	v_accvgpr_read_b32 v39, a25
	v_accvgpr_read_b32 v38, a24
	v_mul_f64 v[4:5], v[40:41], v[174:175]
	v_mul_f64 v[10:11], v[48:49], v[166:167]
	;; [unrolled: 1-line block ×4, first 2 shown]
	v_accvgpr_read_b32 v35, a21
	v_accvgpr_read_b32 v34, a20
	v_mul_f64 v[18:19], v[36:37], v[170:171]
	v_fmac_f64_e32 v[0:1], v[30:31], v[184:185]
	v_fmac_f64_e32 v[4:5], v[38:39], v[172:173]
	;; [unrolled: 1-line block ×6, first 2 shown]
	v_add_f64 v[8:9], v[0:1], -v[4:5]
	v_add_f64 v[2:3], v[10:11], -v[12:13]
	;; [unrolled: 1-line block ×5, first 2 shown]
	v_add_f64 v[2:3], v[2:3], v[20:21]
	v_add_f64 v[26:27], v[2:3], v[8:9]
	v_mul_f64 v[2:3], v[40:41], v[172:173]
	v_fma_f64 v[28:29], v[38:39], v[174:175], -v[2:3]
	v_mul_f64 v[2:3], v[32:33], v[184:185]
	v_fma_f64 v[30:31], v[30:31], v[186:187], -v[2:3]
	v_mul_f64 v[2:3], v[36:37], v[168:169]
	v_mul_f64 v[22:23], v[6:7], s[20:21]
	v_fma_f64 v[34:35], v[34:35], v[170:171], -v[2:3]
	v_mul_f64 v[2:3], v[56:57], v[188:189]
	v_mul_f64 v[6:7], v[52:53], v[180:181]
	v_fma_f64 v[36:37], v[54:55], v[190:191], -v[2:3]
	v_fma_f64 v[40:41], v[50:51], v[182:183], -v[6:7]
	v_mul_f64 v[6:7], v[48:49], v[164:165]
	v_add_f64 v[32:33], v[30:31], v[28:29]
	v_add_f64 v[38:39], v[36:37], v[34:35]
	v_fma_f64 v[42:43], v[46:47], v[166:167], -v[6:7]
	v_add_f64 v[52:53], v[0:1], v[4:5]
	v_add_f64 v[16:17], v[16:17], v[18:19]
	;; [unrolled: 1-line block ×10, first 2 shown]
	v_mov_b64_e32 v[46:47], v[2:3]
	v_mov_b64_e32 v[12:13], v[0:1]
	v_add_f64 v[20:21], v[20:21], -v[8:9]
	v_fmac_f64_e32 v[46:47], s[28:29], v[44:45]
	v_add_f64 v[44:45], v[32:33], -v[6:7]
	v_fmac_f64_e32 v[12:13], s[28:29], v[10:11]
	v_add_f64 v[10:11], v[52:53], -v[4:5]
	v_mul_f64 v[8:9], v[20:21], s[0:1]
	v_fma_f64 v[24:25], s[30:31], v[14:15], v[22:23]
	v_mul_f64 v[44:45], v[44:45], s[16:17]
	v_mul_f64 v[18:19], v[10:11], s[16:17]
	v_add_f64 v[4:5], v[4:5], -v[16:17]
	v_fma_f64 v[58:59], v[14:15], s[26:27], -v[8:9]
	v_add_f64 v[14:15], v[38:39], -v[32:33]
	v_mul_f64 v[54:55], v[4:5], s[18:19]
	v_fma_f64 v[4:5], s[18:19], v[4:5], v[18:19]
	v_add_f64 v[28:29], v[30:31], -v[28:29]
	v_add_f64 v[34:35], v[36:37], -v[34:35]
	v_fma_f64 v[8:9], v[14:15], s[22:23], -v[44:45]
	v_add_f64 v[16:17], v[16:17], -v[52:53]
	v_add_f64 v[6:7], v[6:7], -v[38:39]
	v_add_f64 v[56:57], v[4:5], v[12:13]
	v_add_f64 v[4:5], v[42:43], -v[40:41]
	v_add_f64 v[32:33], v[8:9], v[46:47]
	v_fma_f64 v[8:9], v[16:17], s[22:23], -v[18:19]
	v_add_f64 v[18:19], v[34:35], -v[28:29]
	v_mul_f64 v[48:49], v[6:7], s[18:19]
	v_add_f64 v[30:31], v[28:29], -v[4:5]
	v_add_f64 v[10:11], v[4:5], -v[34:35]
	v_add_f64 v[4:5], v[4:5], v[34:35]
	v_add_f64 v[38:39], v[8:9], v[12:13]
	v_mul_f64 v[8:9], v[18:19], s[0:1]
	v_mul_f64 v[36:37], v[10:11], s[20:21]
	v_add_f64 v[42:43], v[4:5], v[28:29]
	v_fma_f64 v[28:29], v[30:31], s[26:27], -v[8:9]
	v_fma_f64 v[14:15], v[14:15], s[6:7], -v[48:49]
	;; [unrolled: 1-line block ×3, first 2 shown]
	v_fma_f64 v[40:41], s[30:31], v[30:31], v[36:37]
	v_fmac_f64_e32 v[28:29], s[24:25], v[42:43]
	v_add_f64 v[30:31], v[14:15], v[46:47]
	v_fmac_f64_e32 v[20:21], s[24:25], v[26:27]
	v_fma_f64 v[6:7], s[18:19], v[6:7], v[44:45]
	v_add_f64 v[8:9], v[38:39], -v[28:29]
	v_add_f64 v[14:15], v[30:31], -v[20:21]
	v_fma_f64 v[16:17], v[16:17], s[6:7], -v[54:55]
	v_fma_f64 v[22:23], v[18:19], s[0:1], -v[36:37]
	v_add_f64 v[18:19], v[20:21], v[30:31]
	v_add_f64 v[20:21], v[28:29], v[38:39]
	v_mul_u32_u24_e32 v28, 0x77, v213
	v_accvgpr_read_b32 v29, a2
	v_fmac_f64_e32 v[24:25], s[24:25], v[26:27]
	v_add_f64 v[50:51], v[6:7], v[46:47]
	v_fmac_f64_e32 v[40:41], s[24:25], v[42:43]
	v_fmac_f64_e32 v[58:59], s[24:25], v[26:27]
	v_add_f64 v[16:17], v[16:17], v[12:13]
	v_fmac_f64_e32 v[22:23], s[24:25], v[42:43]
	v_add_lshl_u32 v28, v28, v29, 4
	v_add_f64 v[6:7], v[24:25], v[50:51]
	v_add_f64 v[4:5], v[56:57], -v[40:41]
	v_add_f64 v[10:11], v[58:59], v[32:33]
	v_add_f64 v[12:13], v[22:23], v[16:17]
	v_add_f64 v[16:17], v[16:17], -v[22:23]
	v_add_f64 v[22:23], v[32:33], -v[58:59]
	;; [unrolled: 1-line block ×3, first 2 shown]
	v_add_f64 v[24:25], v[40:41], v[56:57]
	ds_write_b128 v28, v[0:3]
	ds_write_b128 v28, v[24:27] offset:272
	ds_write_b128 v28, v[20:23] offset:544
	;; [unrolled: 1-line block ×6, first 2 shown]
.LBB0_21:
	s_or_b64 exec, exec, s[34:35]
	s_waitcnt lgkmcnt(0)
	s_barrier
	ds_read_b128 v[4:7], v216
	ds_read_b128 v[0:3], v216 offset:1904
	ds_read_b128 v[8:11], v216 offset:3808
	;; [unrolled: 1-line block ×12, first 2 shown]
	s_waitcnt lgkmcnt(11)
	v_mul_f64 v[60:61], v[64:65], v[2:3]
	v_accvgpr_read_b32 v24, a60
	v_fmac_f64_e32 v[60:61], v[62:63], v[0:1]
	v_mul_f64 v[0:1], v[64:65], v[0:1]
	v_accvgpr_read_b32 v26, a62
	v_accvgpr_read_b32 v27, a63
	v_fma_f64 v[62:63], v[62:63], v[2:3], -v[0:1]
	v_accvgpr_read_b32 v25, a61
	s_waitcnt lgkmcnt(10)
	v_mul_f64 v[64:65], v[26:27], v[10:11]
	v_mul_f64 v[0:1], v[26:27], v[8:9]
	v_fmac_f64_e32 v[64:65], v[24:25], v[8:9]
	v_fma_f64 v[66:67], v[24:25], v[10:11], -v[0:1]
	v_accvgpr_read_b32 v8, a56
	v_accvgpr_read_b32 v10, a58
	;; [unrolled: 1-line block ×4, first 2 shown]
	s_waitcnt lgkmcnt(9)
	v_mul_f64 v[0:1], v[10:11], v[12:13]
	v_fma_f64 v[34:35], v[8:9], v[14:15], -v[0:1]
	s_waitcnt lgkmcnt(8)
	v_mul_f64 v[0:1], v[70:71], v[16:17]
	v_fma_f64 v[26:27], v[68:69], v[18:19], -v[0:1]
	s_waitcnt lgkmcnt(7)
	v_mul_f64 v[0:1], v[90:91], v[20:21]
	v_mul_f64 v[24:25], v[70:71], v[18:19]
	v_fma_f64 v[18:19], v[88:89], v[22:23], -v[0:1]
	s_waitcnt lgkmcnt(6)
	v_mul_f64 v[0:1], v[86:87], v[28:29]
	;; [unrolled: 4-line block ×3, first 2 shown]
	v_fma_f64 v[14:15], v[80:81], v[38:39], -v[0:1]
	s_waitcnt lgkmcnt(4)
	v_mul_f64 v[0:1], v[78:79], v[40:41]
	v_fmac_f64_e32 v[24:25], v[68:69], v[16:17]
	v_mul_f64 v[16:17], v[90:91], v[22:23]
	v_fma_f64 v[22:23], v[76:77], v[42:43], -v[0:1]
	s_waitcnt lgkmcnt(3)
	v_mul_f64 v[0:1], v[106:107], v[44:45]
	v_fmac_f64_e32 v[32:33], v[8:9], v[12:13]
	v_mul_f64 v[8:9], v[86:87], v[30:31]
	v_fma_f64 v[30:31], v[104:105], v[46:47], -v[0:1]
	s_waitcnt lgkmcnt(2)
	v_mul_f64 v[0:1], v[102:103], v[48:49]
	v_mul_f64 v[12:13], v[82:83], v[38:39]
	v_fma_f64 v[38:39], v[100:101], v[50:51], -v[0:1]
	s_waitcnt lgkmcnt(1)
	v_mul_f64 v[0:1], v[98:99], v[52:53]
	v_fmac_f64_e32 v[16:17], v[88:89], v[20:21]
	v_mul_f64 v[20:21], v[78:79], v[42:43]
	v_fma_f64 v[42:43], v[96:97], v[54:55], -v[0:1]
	s_waitcnt lgkmcnt(0)
	v_mul_f64 v[0:1], v[94:95], v[56:57]
	v_add_f64 v[2:3], v[6:7], v[62:63]
	v_fmac_f64_e32 v[8:9], v[84:85], v[28:29]
	v_mul_f64 v[28:29], v[106:107], v[46:47]
	v_fma_f64 v[46:47], v[92:93], v[58:59], -v[0:1]
	v_add_f64 v[0:1], v[4:5], v[60:61]
	v_add_f64 v[2:3], v[2:3], v[66:67]
	;; [unrolled: 1-line block ×10, first 2 shown]
	v_fmac_f64_e32 v[12:13], v[80:81], v[36:37]
	v_add_f64 v[0:1], v[0:1], v[8:9]
	v_add_f64 v[2:3], v[2:3], v[14:15]
	v_fmac_f64_e32 v[20:21], v[76:77], v[40:41]
	v_add_f64 v[0:1], v[0:1], v[12:13]
	v_add_f64 v[2:3], v[2:3], v[22:23]
	v_fmac_f64_e32 v[28:29], v[104:105], v[44:45]
	v_mul_f64 v[36:37], v[102:103], v[50:51]
	v_add_f64 v[0:1], v[0:1], v[20:21]
	v_add_f64 v[2:3], v[2:3], v[30:31]
	v_fmac_f64_e32 v[36:37], v[100:101], v[48:49]
	v_mul_f64 v[40:41], v[98:99], v[54:55]
	;; [unrolled: 4-line block ×3, first 2 shown]
	v_add_f64 v[0:1], v[0:1], v[36:37]
	v_add_f64 v[2:3], v[2:3], v[42:43]
	s_mov_b32 s22, 0x4267c47c
	s_mov_b32 s16, 0x42a4c3d2
	;; [unrolled: 1-line block ×6, first 2 shown]
	v_fmac_f64_e32 v[44:45], v[92:93], v[56:57]
	v_add_f64 v[0:1], v[0:1], v[40:41]
	v_add_f64 v[2:3], v[2:3], v[46:47]
	;; [unrolled: 1-line block ×3, first 2 shown]
	v_add_f64 v[46:47], v[62:63], -v[46:47]
	s_mov_b32 s23, 0xbfddbe06
	s_mov_b32 s24, 0xe00740e9
	;; [unrolled: 1-line block ×12, first 2 shown]
	v_add_f64 v[0:1], v[0:1], v[44:45]
	v_add_f64 v[48:49], v[60:61], v[44:45]
	v_add_f64 v[44:45], v[60:61], -v[44:45]
	v_mul_f64 v[52:53], v[46:47], s[22:23]
	s_mov_b32 s25, 0x3fec55a7
	v_mul_f64 v[60:61], v[46:47], s[16:17]
	s_mov_b32 s19, 0x3fe22d96
	;; [unrolled: 2-line block ×6, first 2 shown]
	v_fma_f64 v[54:55], s[24:25], v[48:49], v[52:53]
	v_fma_f64 v[52:53], v[48:49], s[24:25], -v[52:53]
	v_fma_f64 v[62:63], s[18:19], v[48:49], v[60:61]
	v_fma_f64 v[60:61], v[48:49], s[18:19], -v[60:61]
	;; [unrolled: 2-line block ×6, first 2 shown]
	v_add_f64 v[54:55], v[4:5], v[54:55]
	v_mul_f64 v[56:57], v[50:51], s[24:25]
	s_mov_b32 s27, 0x3fddbe06
	s_mov_b32 s26, s22
	v_add_f64 v[52:53], v[4:5], v[52:53]
	v_add_f64 v[62:63], v[4:5], v[62:63]
	v_mul_f64 v[68:69], v[50:51], s[18:19]
	s_mov_b32 s21, 0x3fea55e2
	s_mov_b32 s20, s16
	v_add_f64 v[60:61], v[4:5], v[60:61]
	;; [unrolled: 5-line block ×6, first 2 shown]
	v_add_f64 v[46:47], v[66:67], v[42:43]
	v_add_f64 v[42:43], v[66:67], -v[42:43]
	v_fma_f64 v[58:59], s[26:27], v[44:45], v[56:57]
	v_fmac_f64_e32 v[56:57], s[22:23], v[44:45]
	v_fma_f64 v[70:71], s[20:21], v[44:45], v[68:69]
	v_fmac_f64_e32 v[68:69], s[16:17], v[44:45]
	;; [unrolled: 2-line block ×6, first 2 shown]
	v_add_f64 v[44:45], v[64:65], v[40:41]
	v_mul_f64 v[48:49], v[42:43], s[16:17]
	v_add_f64 v[58:59], v[6:7], v[58:59]
	v_add_f64 v[56:57], v[6:7], v[56:57]
	;; [unrolled: 1-line block ×12, first 2 shown]
	v_fma_f64 v[50:51], s[18:19], v[44:45], v[48:49]
	v_add_f64 v[40:41], v[64:65], -v[40:41]
	v_add_f64 v[50:51], v[50:51], v[54:55]
	v_mul_f64 v[54:55], v[46:47], s[18:19]
	v_fma_f64 v[64:65], s[20:21], v[40:41], v[54:55]
	v_fma_f64 v[48:49], v[44:45], s[18:19], -v[48:49]
	v_fmac_f64_e32 v[54:55], s[16:17], v[40:41]
	v_add_f64 v[48:49], v[48:49], v[52:53]
	v_add_f64 v[52:53], v[54:55], v[56:57]
	v_mul_f64 v[54:55], v[42:43], s[28:29]
	v_fma_f64 v[56:57], s[30:31], v[44:45], v[54:55]
	v_add_f64 v[56:57], v[56:57], v[62:63]
	v_mul_f64 v[62:63], v[46:47], s[30:31]
	v_add_f64 v[58:59], v[64:65], v[58:59]
	v_fma_f64 v[64:65], s[34:35], v[40:41], v[62:63]
	v_fma_f64 v[54:55], v[44:45], s[30:31], -v[54:55]
	v_fmac_f64_e32 v[62:63], s[28:29], v[40:41]
	v_add_f64 v[54:55], v[54:55], v[60:61]
	v_add_f64 v[60:61], v[62:63], v[68:69]
	v_mul_f64 v[62:63], v[42:43], s[42:43]
	v_fma_f64 v[66:67], s[44:45], v[44:45], v[62:63]
	v_fma_f64 v[62:63], v[44:45], s[44:45], -v[62:63]
	v_add_f64 v[62:63], v[62:63], v[72:73]
	v_mul_f64 v[72:73], v[42:43], s[40:41]
	v_add_f64 v[66:67], v[66:67], v[74:75]
	v_mul_f64 v[68:69], v[46:47], s[44:45]
	v_fma_f64 v[74:75], s[38:39], v[44:45], v[72:73]
	v_fma_f64 v[72:73], v[44:45], s[38:39], -v[72:73]
	v_add_f64 v[64:65], v[64:65], v[70:71]
	v_fma_f64 v[70:71], s[46:47], v[40:41], v[68:69]
	v_fmac_f64_e32 v[68:69], s[42:43], v[40:41]
	v_add_f64 v[72:73], v[72:73], v[80:81]
	v_mul_f64 v[80:81], v[42:43], s[6:7]
	v_add_f64 v[68:69], v[68:69], v[76:77]
	v_add_f64 v[74:75], v[74:75], v[82:83]
	v_mul_f64 v[76:77], v[46:47], s[38:39]
	v_fma_f64 v[82:83], s[2:3], v[44:45], v[80:81]
	v_fma_f64 v[80:81], v[44:45], s[2:3], -v[80:81]
	v_mul_f64 v[42:43], v[42:43], s[26:27]
	v_add_f64 v[70:71], v[70:71], v[78:79]
	v_fma_f64 v[78:79], s[36:37], v[40:41], v[76:77]
	v_fmac_f64_e32 v[76:77], s[40:41], v[40:41]
	v_add_f64 v[80:81], v[80:81], v[88:89]
	v_fma_f64 v[88:89], s[24:25], v[44:45], v[42:43]
	v_fma_f64 v[42:43], v[44:45], s[24:25], -v[42:43]
	v_add_f64 v[76:77], v[76:77], v[84:85]
	v_mul_f64 v[84:85], v[46:47], s[2:3]
	v_mul_f64 v[46:47], v[46:47], s[24:25]
	v_add_f64 v[4:5], v[42:43], v[4:5]
	v_add_f64 v[42:43], v[34:35], v[38:39]
	v_add_f64 v[34:35], v[34:35], -v[38:39]
	v_add_f64 v[78:79], v[78:79], v[86:87]
	v_add_f64 v[82:83], v[82:83], v[90:91]
	v_fma_f64 v[86:87], s[0:1], v[40:41], v[84:85]
	v_fmac_f64_e32 v[84:85], s[6:7], v[40:41]
	v_fma_f64 v[90:91], s[22:23], v[40:41], v[46:47]
	v_fmac_f64_e32 v[46:47], s[26:27], v[40:41]
	v_add_f64 v[40:41], v[32:33], v[36:37]
	v_add_f64 v[32:33], v[32:33], -v[36:37]
	v_mul_f64 v[36:37], v[34:35], s[0:1]
	v_fma_f64 v[38:39], s[2:3], v[40:41], v[36:37]
	v_fma_f64 v[36:37], v[40:41], s[2:3], -v[36:37]
	v_add_f64 v[36:37], v[36:37], v[48:49]
	v_mul_f64 v[48:49], v[34:35], s[42:43]
	v_add_f64 v[38:39], v[38:39], v[50:51]
	v_mul_f64 v[44:45], v[42:43], s[2:3]
	v_fma_f64 v[50:51], s[44:45], v[40:41], v[48:49]
	v_fma_f64 v[48:49], v[40:41], s[44:45], -v[48:49]
	v_add_f64 v[6:7], v[46:47], v[6:7]
	v_fma_f64 v[46:47], s[6:7], v[32:33], v[44:45]
	v_fmac_f64_e32 v[44:45], s[0:1], v[32:33]
	v_add_f64 v[48:49], v[48:49], v[54:55]
	v_mul_f64 v[54:55], v[34:35], s[34:35]
	v_add_f64 v[46:47], v[46:47], v[58:59]
	v_add_f64 v[44:45], v[44:45], v[52:53]
	v_mul_f64 v[52:53], v[42:43], s[44:45]
	v_fma_f64 v[58:59], s[30:31], v[40:41], v[54:55]
	v_fma_f64 v[54:55], v[40:41], s[30:31], -v[54:55]
	v_add_f64 v[50:51], v[50:51], v[56:57]
	v_fma_f64 v[56:57], s[46:47], v[32:33], v[52:53]
	v_fmac_f64_e32 v[52:53], s[42:43], v[32:33]
	v_add_f64 v[54:55], v[54:55], v[62:63]
	v_mul_f64 v[62:63], v[34:35], s[26:27]
	v_add_f64 v[52:53], v[52:53], v[60:61]
	;; [unrolled: 10-line block ×3, first 2 shown]
	v_add_f64 v[66:67], v[66:67], v[74:75]
	v_mul_f64 v[68:69], v[42:43], s[24:25]
	v_fma_f64 v[74:75], s[18:19], v[40:41], v[72:73]
	v_fma_f64 v[72:73], v[40:41], s[18:19], -v[72:73]
	v_mul_f64 v[34:35], v[34:35], s[36:37]
	v_add_f64 v[64:65], v[64:65], v[70:71]
	v_fma_f64 v[70:71], s[22:23], v[32:33], v[68:69]
	v_fmac_f64_e32 v[68:69], s[26:27], v[32:33]
	v_add_f64 v[72:73], v[72:73], v[80:81]
	v_fma_f64 v[80:81], s[38:39], v[40:41], v[34:35]
	v_fma_f64 v[34:35], v[40:41], s[38:39], -v[34:35]
	v_add_f64 v[68:69], v[68:69], v[76:77]
	v_mul_f64 v[76:77], v[42:43], s[18:19]
	v_mul_f64 v[42:43], v[42:43], s[38:39]
	v_add_f64 v[4:5], v[34:35], v[4:5]
	v_add_f64 v[34:35], v[26:27], v[30:31]
	v_add_f64 v[26:27], v[26:27], -v[30:31]
	v_add_f64 v[70:71], v[70:71], v[78:79]
	v_add_f64 v[74:75], v[74:75], v[82:83]
	v_fma_f64 v[78:79], s[20:21], v[32:33], v[76:77]
	v_fmac_f64_e32 v[76:77], s[16:17], v[32:33]
	v_fma_f64 v[82:83], s[40:41], v[32:33], v[42:43]
	v_fmac_f64_e32 v[42:43], s[36:37], v[32:33]
	v_add_f64 v[32:33], v[24:25], v[28:29]
	v_add_f64 v[24:25], v[24:25], -v[28:29]
	v_mul_f64 v[28:29], v[26:27], s[28:29]
	v_fma_f64 v[30:31], s[30:31], v[32:33], v[28:29]
	v_add_f64 v[30:31], v[30:31], v[38:39]
	v_mul_f64 v[38:39], v[34:35], s[30:31]
	v_fma_f64 v[40:41], s[34:35], v[24:25], v[38:39]
	v_fma_f64 v[28:29], v[32:33], s[30:31], -v[28:29]
	v_fmac_f64_e32 v[38:39], s[28:29], v[24:25]
	v_add_f64 v[28:29], v[28:29], v[36:37]
	v_add_f64 v[36:37], v[38:39], v[44:45]
	v_mul_f64 v[38:39], v[26:27], s[40:41]
	v_add_f64 v[6:7], v[42:43], v[6:7]
	v_fma_f64 v[42:43], s[38:39], v[32:33], v[38:39]
	v_fma_f64 v[38:39], v[32:33], s[38:39], -v[38:39]
	v_add_f64 v[38:39], v[38:39], v[48:49]
	v_mul_f64 v[48:49], v[26:27], s[26:27]
	v_add_f64 v[42:43], v[42:43], v[50:51]
	v_mul_f64 v[44:45], v[34:35], s[38:39]
	v_fma_f64 v[50:51], s[24:25], v[32:33], v[48:49]
	v_fma_f64 v[48:49], v[32:33], s[24:25], -v[48:49]
	v_add_f64 v[40:41], v[40:41], v[46:47]
	v_fma_f64 v[46:47], s[36:37], v[24:25], v[44:45]
	v_fmac_f64_e32 v[44:45], s[40:41], v[24:25]
	v_add_f64 v[48:49], v[48:49], v[54:55]
	v_mul_f64 v[54:55], v[26:27], s[0:1]
	v_add_f64 v[44:45], v[44:45], v[52:53]
	v_add_f64 v[50:51], v[50:51], v[58:59]
	v_mul_f64 v[52:53], v[34:35], s[24:25]
	v_fma_f64 v[58:59], s[2:3], v[32:33], v[54:55]
	v_fma_f64 v[54:55], v[32:33], s[2:3], -v[54:55]
	v_add_f64 v[46:47], v[46:47], v[56:57]
	v_fma_f64 v[56:57], s[22:23], v[24:25], v[52:53]
	v_fmac_f64_e32 v[52:53], s[26:27], v[24:25]
	v_add_f64 v[54:55], v[54:55], v[62:63]
	v_mul_f64 v[62:63], v[26:27], s[46:47]
	v_add_f64 v[52:53], v[52:53], v[60:61]
	v_add_f64 v[58:59], v[58:59], v[66:67]
	v_mul_f64 v[60:61], v[34:35], s[2:3]
	v_fma_f64 v[66:67], s[44:45], v[32:33], v[62:63]
	v_fma_f64 v[62:63], v[32:33], s[44:45], -v[62:63]
	v_mul_f64 v[26:27], v[26:27], s[20:21]
	v_add_f64 v[56:57], v[56:57], v[64:65]
	v_fma_f64 v[64:65], s[6:7], v[24:25], v[60:61]
	v_fmac_f64_e32 v[60:61], s[0:1], v[24:25]
	v_add_f64 v[62:63], v[62:63], v[72:73]
	v_fma_f64 v[72:73], s[18:19], v[32:33], v[26:27]
	v_fma_f64 v[26:27], v[32:33], s[18:19], -v[26:27]
	v_add_f64 v[60:61], v[60:61], v[68:69]
	v_mul_f64 v[68:69], v[34:35], s[44:45]
	v_mul_f64 v[34:35], v[34:35], s[18:19]
	v_add_f64 v[4:5], v[26:27], v[4:5]
	v_add_f64 v[26:27], v[18:19], v[22:23]
	v_add_f64 v[18:19], v[18:19], -v[22:23]
	v_add_f64 v[64:65], v[64:65], v[70:71]
	v_add_f64 v[66:67], v[66:67], v[74:75]
	v_fma_f64 v[70:71], s[42:43], v[24:25], v[68:69]
	v_fmac_f64_e32 v[68:69], s[46:47], v[24:25]
	v_fma_f64 v[74:75], s[16:17], v[24:25], v[34:35]
	v_fmac_f64_e32 v[34:35], s[20:21], v[24:25]
	v_add_f64 v[24:25], v[16:17], v[20:21]
	v_add_f64 v[16:17], v[16:17], -v[20:21]
	v_mul_f64 v[20:21], v[18:19], s[36:37]
	v_fma_f64 v[22:23], s[38:39], v[24:25], v[20:21]
	v_add_f64 v[22:23], v[22:23], v[30:31]
	v_mul_f64 v[30:31], v[26:27], s[38:39]
	v_fma_f64 v[32:33], s[40:41], v[16:17], v[30:31]
	v_fma_f64 v[20:21], v[24:25], s[38:39], -v[20:21]
	v_fmac_f64_e32 v[30:31], s[36:37], v[16:17]
	v_add_f64 v[20:21], v[20:21], v[28:29]
	v_add_f64 v[28:29], v[30:31], v[36:37]
	v_mul_f64 v[30:31], v[18:19], s[6:7]
	v_add_f64 v[6:7], v[34:35], v[6:7]
	v_fma_f64 v[34:35], s[2:3], v[24:25], v[30:31]
	v_mul_f64 v[36:37], v[26:27], s[2:3]
	v_fma_f64 v[30:31], v[24:25], s[2:3], -v[30:31]
	v_add_f64 v[32:33], v[32:33], v[40:41]
	v_fma_f64 v[40:41], s[0:1], v[16:17], v[36:37]
	v_add_f64 v[30:31], v[30:31], v[38:39]
	v_fmac_f64_e32 v[36:37], s[6:7], v[16:17]
	v_mul_f64 v[38:39], v[18:19], s[16:17]
	v_add_f64 v[34:35], v[34:35], v[42:43]
	v_add_f64 v[36:37], v[36:37], v[44:45]
	v_fma_f64 v[42:43], s[18:19], v[24:25], v[38:39]
	v_mul_f64 v[44:45], v[26:27], s[18:19]
	v_fma_f64 v[38:39], v[24:25], s[18:19], -v[38:39]
	v_add_f64 v[40:41], v[40:41], v[46:47]
	v_fma_f64 v[46:47], s[20:21], v[16:17], v[44:45]
	v_add_f64 v[38:39], v[38:39], v[48:49]
	v_fmac_f64_e32 v[44:45], s[16:17], v[16:17]
	v_mul_f64 v[48:49], v[18:19], s[46:47]
	v_add_f64 v[42:43], v[42:43], v[50:51]
	v_add_f64 v[44:45], v[44:45], v[52:53]
	v_fma_f64 v[50:51], s[44:45], v[24:25], v[48:49]
	v_mul_f64 v[52:53], v[26:27], s[44:45]
	v_fma_f64 v[48:49], v[24:25], s[44:45], -v[48:49]
	v_add_f64 v[90:91], v[90:91], v[98:99]
	v_add_f64 v[46:47], v[46:47], v[56:57]
	v_fma_f64 v[56:57], s[42:43], v[16:17], v[52:53]
	v_add_f64 v[48:49], v[48:49], v[54:55]
	v_fmac_f64_e32 v[52:53], s[46:47], v[16:17]
	v_mul_f64 v[54:55], v[18:19], s[26:27]
	v_add_f64 v[82:83], v[82:83], v[90:91]
	v_add_f64 v[50:51], v[50:51], v[58:59]
	;; [unrolled: 1-line block ×3, first 2 shown]
	v_fma_f64 v[58:59], s[24:25], v[24:25], v[54:55]
	v_mul_f64 v[60:61], v[26:27], s[24:25]
	v_mul_f64 v[26:27], v[26:27], s[30:31]
	v_add_f64 v[86:87], v[86:87], v[94:95]
	v_add_f64 v[84:85], v[84:85], v[92:93]
	;; [unrolled: 1-line block ×5, first 2 shown]
	v_fma_f64 v[66:67], s[34:35], v[16:17], v[26:27]
	v_add_f64 v[78:79], v[78:79], v[86:87]
	v_add_f64 v[76:77], v[76:77], v[84:85]
	;; [unrolled: 1-line block ×3, first 2 shown]
	v_fma_f64 v[54:55], v[24:25], s[24:25], -v[54:55]
	v_mul_f64 v[18:19], v[18:19], s[28:29]
	v_add_f64 v[66:67], v[66:67], v[74:75]
	v_add_f64 v[74:75], v[10:11], v[14:15]
	;; [unrolled: 1-line block ×6, first 2 shown]
	v_fma_f64 v[64:65], s[22:23], v[16:17], v[60:61]
	v_add_f64 v[54:55], v[54:55], v[62:63]
	v_fma_f64 v[62:63], s[30:31], v[24:25], v[18:19]
	v_fmac_f64_e32 v[26:27], s[28:29], v[16:17]
	v_add_f64 v[76:77], v[8:9], -v[12:13]
	v_add_f64 v[78:79], v[10:11], -v[14:15]
	v_mul_f64 v[10:11], v[74:75], s[44:45]
	v_add_f64 v[64:65], v[64:65], v[70:71]
	v_fmac_f64_e32 v[60:61], s[26:27], v[16:17]
	v_add_f64 v[62:63], v[62:63], v[72:73]
	v_fma_f64 v[18:19], v[24:25], s[30:31], -v[18:19]
	v_add_f64 v[70:71], v[26:27], v[6:7]
	v_add_f64 v[72:73], v[8:9], v[12:13]
	v_mul_f64 v[8:9], v[78:79], s[42:43]
	v_fma_f64 v[6:7], s[46:47], v[76:77], v[10:11]
	v_add_f64 v[60:61], v[60:61], v[68:69]
	v_add_f64 v[68:69], v[18:19], v[4:5]
	v_fma_f64 v[4:5], s[44:45], v[72:73], v[8:9]
	v_add_f64 v[6:7], v[6:7], v[32:33]
	v_fma_f64 v[8:9], v[72:73], s[44:45], -v[8:9]
	v_fmac_f64_e32 v[10:11], s[42:43], v[76:77]
	v_mul_f64 v[16:17], v[78:79], s[26:27]
	v_mul_f64 v[18:19], v[74:75], s[24:25]
	;; [unrolled: 1-line block ×4, first 2 shown]
	v_add_f64 v[8:9], v[8:9], v[20:21]
	v_add_f64 v[10:11], v[10:11], v[28:29]
	v_fma_f64 v[12:13], s[24:25], v[72:73], v[16:17]
	v_fma_f64 v[14:15], s[22:23], v[76:77], v[18:19]
	;; [unrolled: 1-line block ×3, first 2 shown]
	v_mul_f64 v[26:27], v[74:75], s[38:39]
	v_fma_f64 v[28:29], s[18:19], v[72:73], v[32:33]
	v_fma_f64 v[32:33], v[72:73], s[18:19], -v[32:33]
	v_add_f64 v[4:5], v[4:5], v[22:23]
	v_add_f64 v[12:13], v[12:13], v[34:35]
	;; [unrolled: 1-line block ×3, first 2 shown]
	v_fma_f64 v[16:17], v[72:73], s[24:25], -v[16:17]
	v_fmac_f64_e32 v[18:19], s[26:27], v[76:77]
	v_add_f64 v[20:21], v[20:21], v[42:43]
	v_fma_f64 v[22:23], s[40:41], v[76:77], v[26:27]
	v_fma_f64 v[24:25], v[72:73], s[38:39], -v[24:25]
	v_fmac_f64_e32 v[26:27], s[36:37], v[76:77]
	v_add_f64 v[28:29], v[28:29], v[50:51]
	v_mul_f64 v[34:35], v[74:75], s[18:19]
	v_add_f64 v[32:33], v[32:33], v[48:49]
	v_mul_f64 v[40:41], v[78:79], s[28:29]
	v_mul_f64 v[42:43], v[74:75], s[30:31]
	;; [unrolled: 1-line block ×4, first 2 shown]
	v_add_f64 v[16:17], v[16:17], v[30:31]
	v_add_f64 v[18:19], v[18:19], v[36:37]
	;; [unrolled: 1-line block ×5, first 2 shown]
	v_fma_f64 v[30:31], s[16:17], v[76:77], v[34:35]
	v_fmac_f64_e32 v[34:35], s[20:21], v[76:77]
	v_fma_f64 v[36:37], s[30:31], v[72:73], v[40:41]
	v_fma_f64 v[38:39], s[34:35], v[76:77], v[42:43]
	v_fma_f64 v[40:41], v[72:73], s[30:31], -v[40:41]
	v_fmac_f64_e32 v[42:43], s[28:29], v[76:77]
	v_fma_f64 v[44:45], s[2:3], v[72:73], v[48:49]
	v_fma_f64 v[46:47], s[0:1], v[76:77], v[50:51]
	v_fma_f64 v[48:49], v[72:73], s[2:3], -v[48:49]
	v_fmac_f64_e32 v[50:51], s[6:7], v[76:77]
	v_add_f64 v[30:31], v[30:31], v[56:57]
	v_add_f64 v[34:35], v[34:35], v[52:53]
	v_add_f64 v[36:37], v[36:37], v[58:59]
	v_add_f64 v[38:39], v[38:39], v[64:65]
	v_add_f64 v[40:41], v[40:41], v[54:55]
	v_add_f64 v[42:43], v[42:43], v[60:61]
	v_add_f64 v[44:45], v[44:45], v[62:63]
	v_add_f64 v[46:47], v[46:47], v[66:67]
	v_add_f64 v[48:49], v[48:49], v[68:69]
	v_add_f64 v[50:51], v[50:51], v[70:71]
	ds_write_b128 v216, v[0:3]
	ds_write_b128 v216, v[4:7] offset:1904
	ds_write_b128 v216, v[12:15] offset:3808
	;; [unrolled: 1-line block ×12, first 2 shown]
	s_waitcnt lgkmcnt(0)
	s_barrier
	s_and_b64 exec, exec, s[4:5]
	s_cbranch_execz .LBB0_23
; %bb.22:
	global_load_dwordx4 v[0:3], v216, s[12:13]
	v_accvgpr_read_b32 v26, a0
	v_mad_u64_u32 v[14:15], s[0:1], s10, v26, 0
	ds_read_b128 v[4:7], v216
	ds_read_b128 v[8:11], v216 offset:1456
	ds_read_b128 v[18:21], v216 offset:23296
	v_mov_b32_e32 v22, v15
	v_mad_u64_u32 v[16:17], s[2:3], s8, v217, 0
	v_mad_u64_u32 v[22:23], s[2:3], s11, v26, v[22:23]
	v_mov_b32_e32 v12, s14
	v_mov_b32_e32 v13, s15
	;; [unrolled: 1-line block ×4, first 2 shown]
	s_mov_b32 s0, 0x152e8015
	v_mad_u64_u32 v[24:25], s[2:3], s9, v217, v[24:25]
	v_lshl_add_u64 v[12:13], v[14:15], 4, v[12:13]
	s_mov_b32 s1, 0x3f452e80
	v_mov_b32_e32 v17, v24
	v_lshl_add_u64 v[12:13], v[16:17], 4, v[12:13]
	v_mov_b32_e32 v24, 0x5b0
	s_mul_i32 s2, s9, 0x5b0
	v_mov_b32_e32 v217, 0
	s_movk_i32 s3, 0x1000
	s_waitcnt vmcnt(0) lgkmcnt(2)
	v_mul_f64 v[14:15], v[6:7], v[2:3]
	v_mul_f64 v[2:3], v[4:5], v[2:3]
	v_fmac_f64_e32 v[14:15], v[4:5], v[0:1]
	v_fma_f64 v[2:3], v[0:1], v[6:7], -v[2:3]
	v_mul_f64 v[0:1], v[14:15], s[0:1]
	v_mul_f64 v[2:3], v[2:3], s[0:1]
	global_store_dwordx4 v[12:13], v[0:3], off
	global_load_dwordx4 v[0:3], v216, s[12:13] offset:1456
	v_mad_u64_u32 v[12:13], s[4:5], s8, v24, v[12:13]
	v_add_u32_e32 v13, s2, v13
	v_lshl_add_u64 v[14:15], s[12:13], 0, v[216:217]
	v_add_co_u32_e32 v16, vcc, s3, v14
	s_movk_i32 s3, 0x2000
	s_nop 0
	v_addc_co_u32_e32 v17, vcc, 0, v15, vcc
	s_waitcnt vmcnt(0) lgkmcnt(1)
	v_mul_f64 v[4:5], v[10:11], v[2:3]
	v_mul_f64 v[2:3], v[8:9], v[2:3]
	v_fmac_f64_e32 v[4:5], v[8:9], v[0:1]
	v_fma_f64 v[2:3], v[0:1], v[10:11], -v[2:3]
	v_mul_f64 v[0:1], v[4:5], s[0:1]
	v_mul_f64 v[2:3], v[2:3], s[0:1]
	global_store_dwordx4 v[12:13], v[0:3], off
	global_load_dwordx4 v[0:3], v216, s[12:13] offset:2912
	ds_read_b128 v[4:7], v216 offset:2912
	ds_read_b128 v[8:11], v216 offset:4368
	v_mad_u64_u32 v[12:13], s[4:5], s8, v24, v[12:13]
	v_add_u32_e32 v13, s2, v13
	s_waitcnt vmcnt(0) lgkmcnt(1)
	v_mul_f64 v[22:23], v[6:7], v[2:3]
	v_mul_f64 v[2:3], v[4:5], v[2:3]
	v_fmac_f64_e32 v[22:23], v[4:5], v[0:1]
	v_fma_f64 v[2:3], v[0:1], v[6:7], -v[2:3]
	v_mul_f64 v[0:1], v[22:23], s[0:1]
	v_mul_f64 v[2:3], v[2:3], s[0:1]
	global_store_dwordx4 v[12:13], v[0:3], off
	global_load_dwordx4 v[0:3], v[16:17], off offset:272
	v_mad_u64_u32 v[12:13], s[4:5], s8, v24, v[12:13]
	v_add_u32_e32 v13, s2, v13
	s_waitcnt vmcnt(0) lgkmcnt(0)
	v_mul_f64 v[4:5], v[10:11], v[2:3]
	v_mul_f64 v[2:3], v[8:9], v[2:3]
	v_fmac_f64_e32 v[4:5], v[8:9], v[0:1]
	v_fma_f64 v[2:3], v[0:1], v[10:11], -v[2:3]
	v_mul_f64 v[0:1], v[4:5], s[0:1]
	v_mul_f64 v[2:3], v[2:3], s[0:1]
	global_store_dwordx4 v[12:13], v[0:3], off
	global_load_dwordx4 v[0:3], v[16:17], off offset:1728
	ds_read_b128 v[4:7], v216 offset:5824
	ds_read_b128 v[8:11], v216 offset:7280
	v_mad_u64_u32 v[12:13], s[4:5], s8, v24, v[12:13]
	v_add_u32_e32 v13, s2, v13
	s_waitcnt vmcnt(0) lgkmcnt(1)
	v_mul_f64 v[22:23], v[6:7], v[2:3]
	v_mul_f64 v[2:3], v[4:5], v[2:3]
	v_fmac_f64_e32 v[22:23], v[4:5], v[0:1]
	v_fma_f64 v[2:3], v[0:1], v[6:7], -v[2:3]
	v_mul_f64 v[0:1], v[22:23], s[0:1]
	v_mul_f64 v[2:3], v[2:3], s[0:1]
	global_store_dwordx4 v[12:13], v[0:3], off
	global_load_dwordx4 v[0:3], v[16:17], off offset:3184
	v_mad_u64_u32 v[12:13], s[4:5], s8, v24, v[12:13]
	v_add_co_u32_e32 v16, vcc, s3, v14
	v_add_u32_e32 v13, s2, v13
	s_nop 0
	v_addc_co_u32_e32 v17, vcc, 0, v15, vcc
	s_movk_i32 s3, 0x3000
	s_waitcnt vmcnt(0) lgkmcnt(0)
	v_mul_f64 v[4:5], v[10:11], v[2:3]
	v_mul_f64 v[2:3], v[8:9], v[2:3]
	v_fmac_f64_e32 v[4:5], v[8:9], v[0:1]
	v_fma_f64 v[2:3], v[0:1], v[10:11], -v[2:3]
	v_mul_f64 v[0:1], v[4:5], s[0:1]
	v_mul_f64 v[2:3], v[2:3], s[0:1]
	global_store_dwordx4 v[12:13], v[0:3], off
	global_load_dwordx4 v[0:3], v[16:17], off offset:544
	ds_read_b128 v[4:7], v216 offset:8736
	ds_read_b128 v[8:11], v216 offset:10192
	v_mad_u64_u32 v[12:13], s[4:5], s8, v24, v[12:13]
	v_add_u32_e32 v13, s2, v13
	s_waitcnt vmcnt(0) lgkmcnt(1)
	v_mul_f64 v[22:23], v[6:7], v[2:3]
	v_mul_f64 v[2:3], v[4:5], v[2:3]
	v_fmac_f64_e32 v[22:23], v[4:5], v[0:1]
	v_fma_f64 v[2:3], v[0:1], v[6:7], -v[2:3]
	v_mul_f64 v[0:1], v[22:23], s[0:1]
	v_mul_f64 v[2:3], v[2:3], s[0:1]
	global_store_dwordx4 v[12:13], v[0:3], off
	global_load_dwordx4 v[0:3], v[16:17], off offset:2000
	v_mad_u64_u32 v[12:13], s[4:5], s8, v24, v[12:13]
	v_add_u32_e32 v13, s2, v13
	s_waitcnt vmcnt(0) lgkmcnt(0)
	v_mul_f64 v[4:5], v[10:11], v[2:3]
	v_mul_f64 v[2:3], v[8:9], v[2:3]
	v_fmac_f64_e32 v[4:5], v[8:9], v[0:1]
	v_fma_f64 v[2:3], v[0:1], v[10:11], -v[2:3]
	v_mul_f64 v[0:1], v[4:5], s[0:1]
	v_mul_f64 v[2:3], v[2:3], s[0:1]
	global_store_dwordx4 v[12:13], v[0:3], off
	global_load_dwordx4 v[0:3], v[16:17], off offset:3456
	ds_read_b128 v[4:7], v216 offset:11648
	ds_read_b128 v[8:11], v216 offset:13104
	v_mad_u64_u32 v[12:13], s[4:5], s8, v24, v[12:13]
	v_add_co_u32_e32 v16, vcc, s3, v14
	v_add_u32_e32 v13, s2, v13
	s_nop 0
	v_addc_co_u32_e32 v17, vcc, 0, v15, vcc
	s_movk_i32 s3, 0x4000
	s_waitcnt vmcnt(0) lgkmcnt(1)
	v_mul_f64 v[22:23], v[6:7], v[2:3]
	v_mul_f64 v[2:3], v[4:5], v[2:3]
	v_fmac_f64_e32 v[22:23], v[4:5], v[0:1]
	v_fma_f64 v[2:3], v[0:1], v[6:7], -v[2:3]
	v_mul_f64 v[0:1], v[22:23], s[0:1]
	v_mul_f64 v[2:3], v[2:3], s[0:1]
	global_store_dwordx4 v[12:13], v[0:3], off
	global_load_dwordx4 v[0:3], v[16:17], off offset:816
	v_mad_u64_u32 v[12:13], s[4:5], s8, v24, v[12:13]
	v_add_u32_e32 v13, s2, v13
	s_waitcnt vmcnt(0) lgkmcnt(0)
	v_mul_f64 v[4:5], v[10:11], v[2:3]
	v_mul_f64 v[2:3], v[8:9], v[2:3]
	v_fmac_f64_e32 v[4:5], v[8:9], v[0:1]
	v_fma_f64 v[2:3], v[0:1], v[10:11], -v[2:3]
	v_mul_f64 v[0:1], v[4:5], s[0:1]
	v_mul_f64 v[2:3], v[2:3], s[0:1]
	global_store_dwordx4 v[12:13], v[0:3], off
	global_load_dwordx4 v[0:3], v[16:17], off offset:2272
	ds_read_b128 v[4:7], v216 offset:14560
	ds_read_b128 v[8:11], v216 offset:16016
	v_mad_u64_u32 v[12:13], s[4:5], s8, v24, v[12:13]
	v_add_u32_e32 v13, s2, v13
	s_waitcnt vmcnt(0) lgkmcnt(1)
	v_mul_f64 v[22:23], v[6:7], v[2:3]
	v_mul_f64 v[2:3], v[4:5], v[2:3]
	v_fmac_f64_e32 v[22:23], v[4:5], v[0:1]
	v_fma_f64 v[2:3], v[0:1], v[6:7], -v[2:3]
	v_mul_f64 v[0:1], v[22:23], s[0:1]
	v_mul_f64 v[2:3], v[2:3], s[0:1]
	global_store_dwordx4 v[12:13], v[0:3], off
	global_load_dwordx4 v[0:3], v[16:17], off offset:3728
	v_mad_u64_u32 v[12:13], s[4:5], s8, v24, v[12:13]
	v_add_co_u32_e32 v16, vcc, s3, v14
	v_add_u32_e32 v13, s2, v13
	s_nop 0
	v_addc_co_u32_e32 v17, vcc, 0, v15, vcc
	s_movk_i32 s3, 0x5000
	v_add_co_u32_e32 v14, vcc, s3, v14
	s_waitcnt vmcnt(0) lgkmcnt(0)
	v_mul_f64 v[4:5], v[10:11], v[2:3]
	v_mul_f64 v[2:3], v[8:9], v[2:3]
	v_fmac_f64_e32 v[4:5], v[8:9], v[0:1]
	v_fma_f64 v[2:3], v[0:1], v[10:11], -v[2:3]
	v_mul_f64 v[0:1], v[4:5], s[0:1]
	v_mul_f64 v[2:3], v[2:3], s[0:1]
	global_store_dwordx4 v[12:13], v[0:3], off
	global_load_dwordx4 v[0:3], v[16:17], off offset:1088
	ds_read_b128 v[4:7], v216 offset:17472
	ds_read_b128 v[8:11], v216 offset:18928
	v_mad_u64_u32 v[12:13], s[4:5], s8, v24, v[12:13]
	v_add_u32_e32 v13, s2, v13
	v_addc_co_u32_e32 v15, vcc, 0, v15, vcc
	s_waitcnt vmcnt(0) lgkmcnt(1)
	v_mul_f64 v[22:23], v[6:7], v[2:3]
	v_mul_f64 v[2:3], v[4:5], v[2:3]
	v_fmac_f64_e32 v[22:23], v[4:5], v[0:1]
	v_fma_f64 v[2:3], v[0:1], v[6:7], -v[2:3]
	v_mul_f64 v[0:1], v[22:23], s[0:1]
	v_mul_f64 v[2:3], v[2:3], s[0:1]
	global_store_dwordx4 v[12:13], v[0:3], off
	global_load_dwordx4 v[0:3], v[16:17], off offset:2544
	v_mad_u64_u32 v[12:13], s[4:5], s8, v24, v[12:13]
	v_add_u32_e32 v13, s2, v13
	s_waitcnt vmcnt(0) lgkmcnt(0)
	v_mul_f64 v[4:5], v[10:11], v[2:3]
	v_mul_f64 v[2:3], v[8:9], v[2:3]
	v_fmac_f64_e32 v[4:5], v[8:9], v[0:1]
	v_fma_f64 v[2:3], v[0:1], v[10:11], -v[2:3]
	v_mul_f64 v[0:1], v[4:5], s[0:1]
	v_mul_f64 v[2:3], v[2:3], s[0:1]
	global_store_dwordx4 v[12:13], v[0:3], off
	global_load_dwordx4 v[0:3], v[16:17], off offset:4000
	ds_read_b128 v[4:7], v216 offset:20384
	ds_read_b128 v[8:11], v216 offset:21840
	v_mad_u64_u32 v[12:13], s[4:5], s8, v24, v[12:13]
	v_add_u32_e32 v13, s2, v13
	s_waitcnt vmcnt(0) lgkmcnt(1)
	v_mul_f64 v[16:17], v[6:7], v[2:3]
	v_mul_f64 v[2:3], v[4:5], v[2:3]
	v_fmac_f64_e32 v[16:17], v[4:5], v[0:1]
	v_fma_f64 v[2:3], v[0:1], v[6:7], -v[2:3]
	v_mul_f64 v[0:1], v[16:17], s[0:1]
	v_mul_f64 v[2:3], v[2:3], s[0:1]
	global_store_dwordx4 v[12:13], v[0:3], off
	global_load_dwordx4 v[0:3], v[14:15], off offset:1360
	v_mad_u64_u32 v[4:5], s[4:5], s8, v24, v[12:13]
	v_add_u32_e32 v5, s2, v5
	s_waitcnt vmcnt(0) lgkmcnt(0)
	v_mul_f64 v[6:7], v[10:11], v[2:3]
	v_mul_f64 v[2:3], v[8:9], v[2:3]
	v_fmac_f64_e32 v[6:7], v[8:9], v[0:1]
	v_fma_f64 v[2:3], v[0:1], v[10:11], -v[2:3]
	v_mul_f64 v[0:1], v[6:7], s[0:1]
	v_mul_f64 v[2:3], v[2:3], s[0:1]
	global_store_dwordx4 v[4:5], v[0:3], off
	global_load_dwordx4 v[0:3], v[14:15], off offset:2816
	v_mad_u64_u32 v[4:5], s[4:5], s8, v24, v[4:5]
	v_add_u32_e32 v5, s2, v5
	s_waitcnt vmcnt(0)
	v_mul_f64 v[6:7], v[20:21], v[2:3]
	v_mul_f64 v[2:3], v[18:19], v[2:3]
	v_fmac_f64_e32 v[6:7], v[18:19], v[0:1]
	v_fma_f64 v[2:3], v[0:1], v[20:21], -v[2:3]
	v_mul_f64 v[0:1], v[6:7], s[0:1]
	v_mul_f64 v[2:3], v[2:3], s[0:1]
	global_store_dwordx4 v[4:5], v[0:3], off
.LBB0_23:
	s_endpgm
	.section	.rodata,"a",@progbits
	.p2align	6, 0x0
	.amdhsa_kernel bluestein_single_back_len1547_dim1_dp_op_CI_CI
		.amdhsa_group_segment_fixed_size 24752
		.amdhsa_private_segment_fixed_size 0
		.amdhsa_kernarg_size 104
		.amdhsa_user_sgpr_count 2
		.amdhsa_user_sgpr_dispatch_ptr 0
		.amdhsa_user_sgpr_queue_ptr 0
		.amdhsa_user_sgpr_kernarg_segment_ptr 1
		.amdhsa_user_sgpr_dispatch_id 0
		.amdhsa_user_sgpr_kernarg_preload_length 0
		.amdhsa_user_sgpr_kernarg_preload_offset 0
		.amdhsa_user_sgpr_private_segment_size 0
		.amdhsa_uses_dynamic_stack 0
		.amdhsa_enable_private_segment 0
		.amdhsa_system_sgpr_workgroup_id_x 1
		.amdhsa_system_sgpr_workgroup_id_y 0
		.amdhsa_system_sgpr_workgroup_id_z 0
		.amdhsa_system_sgpr_workgroup_info 0
		.amdhsa_system_vgpr_workitem_id 0
		.amdhsa_next_free_vgpr 376
		.amdhsa_next_free_sgpr 64
		.amdhsa_accum_offset 256
		.amdhsa_reserve_vcc 1
		.amdhsa_float_round_mode_32 0
		.amdhsa_float_round_mode_16_64 0
		.amdhsa_float_denorm_mode_32 3
		.amdhsa_float_denorm_mode_16_64 3
		.amdhsa_dx10_clamp 1
		.amdhsa_ieee_mode 1
		.amdhsa_fp16_overflow 0
		.amdhsa_tg_split 0
		.amdhsa_exception_fp_ieee_invalid_op 0
		.amdhsa_exception_fp_denorm_src 0
		.amdhsa_exception_fp_ieee_div_zero 0
		.amdhsa_exception_fp_ieee_overflow 0
		.amdhsa_exception_fp_ieee_underflow 0
		.amdhsa_exception_fp_ieee_inexact 0
		.amdhsa_exception_int_div_zero 0
	.end_amdhsa_kernel
	.text
.Lfunc_end0:
	.size	bluestein_single_back_len1547_dim1_dp_op_CI_CI, .Lfunc_end0-bluestein_single_back_len1547_dim1_dp_op_CI_CI
                                        ; -- End function
	.section	.AMDGPU.csdata,"",@progbits
; Kernel info:
; codeLenInByte = 33988
; NumSgprs: 70
; NumVgprs: 256
; NumAgprs: 120
; TotalNumVgprs: 376
; ScratchSize: 0
; MemoryBound: 0
; FloatMode: 240
; IeeeMode: 1
; LDSByteSize: 24752 bytes/workgroup (compile time only)
; SGPRBlocks: 8
; VGPRBlocks: 46
; NumSGPRsForWavesPerEU: 70
; NumVGPRsForWavesPerEU: 376
; AccumOffset: 256
; Occupancy: 1
; WaveLimiterHint : 1
; COMPUTE_PGM_RSRC2:SCRATCH_EN: 0
; COMPUTE_PGM_RSRC2:USER_SGPR: 2
; COMPUTE_PGM_RSRC2:TRAP_HANDLER: 0
; COMPUTE_PGM_RSRC2:TGID_X_EN: 1
; COMPUTE_PGM_RSRC2:TGID_Y_EN: 0
; COMPUTE_PGM_RSRC2:TGID_Z_EN: 0
; COMPUTE_PGM_RSRC2:TIDIG_COMP_CNT: 0
; COMPUTE_PGM_RSRC3_GFX90A:ACCUM_OFFSET: 63
; COMPUTE_PGM_RSRC3_GFX90A:TG_SPLIT: 0
	.text
	.p2alignl 6, 3212836864
	.fill 256, 4, 3212836864
	.type	__hip_cuid_afec9cc282a06c72,@object ; @__hip_cuid_afec9cc282a06c72
	.section	.bss,"aw",@nobits
	.globl	__hip_cuid_afec9cc282a06c72
__hip_cuid_afec9cc282a06c72:
	.byte	0                               ; 0x0
	.size	__hip_cuid_afec9cc282a06c72, 1

	.ident	"AMD clang version 19.0.0git (https://github.com/RadeonOpenCompute/llvm-project roc-6.4.0 25133 c7fe45cf4b819c5991fe208aaa96edf142730f1d)"
	.section	".note.GNU-stack","",@progbits
	.addrsig
	.addrsig_sym __hip_cuid_afec9cc282a06c72
	.amdgpu_metadata
---
amdhsa.kernels:
  - .agpr_count:     120
    .args:
      - .actual_access:  read_only
        .address_space:  global
        .offset:         0
        .size:           8
        .value_kind:     global_buffer
      - .actual_access:  read_only
        .address_space:  global
        .offset:         8
        .size:           8
        .value_kind:     global_buffer
      - .actual_access:  read_only
        .address_space:  global
        .offset:         16
        .size:           8
        .value_kind:     global_buffer
      - .actual_access:  read_only
        .address_space:  global
        .offset:         24
        .size:           8
        .value_kind:     global_buffer
      - .actual_access:  read_only
        .address_space:  global
        .offset:         32
        .size:           8
        .value_kind:     global_buffer
      - .offset:         40
        .size:           8
        .value_kind:     by_value
      - .address_space:  global
        .offset:         48
        .size:           8
        .value_kind:     global_buffer
      - .address_space:  global
        .offset:         56
        .size:           8
        .value_kind:     global_buffer
      - .address_space:  global
        .offset:         64
        .size:           8
        .value_kind:     global_buffer
      - .address_space:  global
        .offset:         72
        .size:           8
        .value_kind:     global_buffer
      - .offset:         80
        .size:           4
        .value_kind:     by_value
      - .address_space:  global
        .offset:         88
        .size:           8
        .value_kind:     global_buffer
      - .address_space:  global
        .offset:         96
        .size:           8
        .value_kind:     global_buffer
    .group_segment_fixed_size: 24752
    .kernarg_segment_align: 8
    .kernarg_segment_size: 104
    .language:       OpenCL C
    .language_version:
      - 2
      - 0
    .max_flat_workgroup_size: 119
    .name:           bluestein_single_back_len1547_dim1_dp_op_CI_CI
    .private_segment_fixed_size: 0
    .sgpr_count:     70
    .sgpr_spill_count: 0
    .symbol:         bluestein_single_back_len1547_dim1_dp_op_CI_CI.kd
    .uniform_work_group_size: 1
    .uses_dynamic_stack: false
    .vgpr_count:     376
    .vgpr_spill_count: 0
    .wavefront_size: 64
amdhsa.target:   amdgcn-amd-amdhsa--gfx950
amdhsa.version:
  - 1
  - 2
...

	.end_amdgpu_metadata
